;; amdgpu-corpus repo=ROCm/rocFFT kind=compiled arch=gfx1030 opt=O3
	.text
	.amdgcn_target "amdgcn-amd-amdhsa--gfx1030"
	.amdhsa_code_object_version 6
	.protected	bluestein_single_fwd_len1560_dim1_dp_op_CI_CI ; -- Begin function bluestein_single_fwd_len1560_dim1_dp_op_CI_CI
	.globl	bluestein_single_fwd_len1560_dim1_dp_op_CI_CI
	.p2align	8
	.type	bluestein_single_fwd_len1560_dim1_dp_op_CI_CI,@function
bluestein_single_fwd_len1560_dim1_dp_op_CI_CI: ; @bluestein_single_fwd_len1560_dim1_dp_op_CI_CI
; %bb.0:
	s_mov_b64 s[50:51], s[2:3]
	s_mov_b64 s[48:49], s[0:1]
	s_load_dwordx4 s[0:3], s[4:5], 0x28
	v_mul_u32_u24_e32 v1, 0x1a5, v0
	v_mov_b32_e32 v234, 0
	s_add_u32 s48, s48, s7
	s_addc_u32 s49, s49, 0
	v_lshrrev_b32_e32 v1, 16, v1
	v_add_nc_u32_e32 v233, s6, v1
	s_waitcnt lgkmcnt(0)
	v_cmp_gt_u64_e32 vcc_lo, s[0:1], v[233:234]
	s_and_saveexec_b32 s0, vcc_lo
	s_cbranch_execz .LBB0_23
; %bb.1:
	s_clause 0x1
	s_load_dwordx2 s[14:15], s[4:5], 0x0
	s_load_dwordx2 s[12:13], s[4:5], 0x38
	v_mul_lo_u16 v1, 0x9c, v1
	v_sub_nc_u16 v0, v0, v1
	v_and_b32_e32 v242, 0xffff, v0
	v_cmp_gt_u16_e32 vcc_lo, 0x78, v0
	v_lshlrev_b32_e32 v252, 4, v242
	s_and_saveexec_b32 s1, vcc_lo
	s_cbranch_execz .LBB0_3
; %bb.2:
	s_load_dwordx2 s[6:7], s[4:5], 0x18
	s_waitcnt lgkmcnt(0)
	v_add_co_u32 v90, s0, s14, v252
	v_add_co_ci_u32_e64 v91, null, s15, 0, s0
	v_add_co_u32 v8, s0, 0x800, v90
	v_add_co_ci_u32_e64 v9, s0, 0, v91, s0
	v_add_co_u32 v12, s0, 0x1000, v90
	v_add_co_ci_u32_e64 v13, s0, 0, v91, s0
	;; [unrolled: 2-line block ×3, first 2 shown]
	v_add_co_u32 v20, s0, 0x2000, v90
	s_load_dwordx4 s[8:11], s[6:7], 0x0
	v_add_co_ci_u32_e64 v21, s0, 0, v91, s0
	v_add_co_u32 v24, s0, 0x2800, v90
	v_add_co_ci_u32_e64 v25, s0, 0, v91, s0
	v_add_co_u32 v28, s0, 0x3000, v90
	;; [unrolled: 2-line block ×5, first 2 shown]
	s_waitcnt lgkmcnt(0)
	v_mad_u64_u32 v[22:23], null, s10, v233, 0
	v_mad_u64_u32 v[26:27], null, s8, v242, 0
	v_add_co_ci_u32_e64 v85, s0, 0, v91, s0
	s_mul_i32 s6, s9, 0x780
	s_mul_hi_u32 s7, s8, 0x780
	v_mov_b32_e32 v10, v23
	s_add_i32 s7, s7, s6
	v_mov_b32_e32 v11, v27
	s_clause 0x1
	global_load_dwordx4 v[0:3], v252, s[14:15]
	global_load_dwordx4 v[4:7], v252, s[14:15] offset:1920
	v_mad_u64_u32 v[14:15], null, s11, v233, v[10:11]
	v_mad_u64_u32 v[30:31], null, s9, v242, v[11:12]
	v_mov_b32_e32 v23, v14
	s_clause 0x2
	global_load_dwordx4 v[8:11], v[8:9], off offset:1792
	global_load_dwordx4 v[12:15], v[12:13], off offset:1664
	;; [unrolled: 1-line block ×3, first 2 shown]
	v_mov_b32_e32 v27, v30
	s_clause 0x1
	global_load_dwordx4 v[36:39], v[36:37], off offset:896
	global_load_dwordx4 v[32:35], v[32:33], off offset:1024
	v_lshlrev_b64 v[30:31], 4, v[22:23]
	global_load_dwordx4 v[20:23], v[20:21], off offset:1408
	v_lshlrev_b64 v[26:27], 4, v[26:27]
	v_add_co_u32 v30, s0, s2, v30
	v_add_co_ci_u32_e64 v31, s0, s3, v31, s0
	s_mul_i32 s2, s8, 0x780
	v_add_co_u32 v40, s0, v30, v26
	v_add_co_ci_u32_e64 v41, s0, v31, v27, s0
	global_load_dwordx4 v[24:27], v[24:25], off offset:1280
	v_add_co_u32 v44, s0, v40, s2
	v_add_co_ci_u32_e64 v45, s0, s7, v41, s0
	global_load_dwordx4 v[28:31], v[28:29], off offset:1152
	v_add_co_u32 v48, s0, v44, s2
	v_add_co_ci_u32_e64 v49, s0, s7, v45, s0
	s_clause 0x1
	global_load_dwordx4 v[40:43], v[40:41], off
	global_load_dwordx4 v[44:47], v[44:45], off
	v_add_co_u32 v52, s0, v48, s2
	v_add_co_ci_u32_e64 v53, s0, s7, v49, s0
	global_load_dwordx4 v[48:51], v[48:49], off
	v_add_co_u32 v56, s0, v52, s2
	v_add_co_ci_u32_e64 v57, s0, s7, v53, s0
	;; [unrolled: 3-line block ×5, first 2 shown]
	v_add_co_u32 v72, s0, v68, s2
	v_add_co_ci_u32_e64 v73, s0, s7, v69, s0
	v_add_co_u32 v76, s0, v72, s2
	v_add_co_ci_u32_e64 v77, s0, s7, v73, s0
	v_add_co_u32 v86, s0, v76, s2
	v_add_co_ci_u32_e64 v87, s0, s7, v77, s0
	global_load_dwordx4 v[64:67], v[64:65], off
	global_load_dwordx4 v[68:71], v[68:69], off
	;; [unrolled: 1-line block ×5, first 2 shown]
	v_add_co_u32 v88, s0, v86, s2
	v_add_co_ci_u32_e64 v89, s0, s7, v87, s0
	v_add_co_u32 v92, s0, 0x5000, v90
	v_add_co_ci_u32_e64 v93, s0, 0, v91, s0
	;; [unrolled: 2-line block ×4, first 2 shown]
	global_load_dwordx4 v[84:87], v[84:85], off offset:768
	global_load_dwordx4 v[88:91], v[88:89], off
	s_clause 0x1
	global_load_dwordx4 v[92:95], v[92:93], off offset:640
	global_load_dwordx4 v[96:99], v[96:97], off offset:512
	global_load_dwordx4 v[100:103], v[100:101], off
	s_waitcnt vmcnt(15)
	v_mul_f64 v[104:105], v[42:43], v[2:3]
	v_mul_f64 v[2:3], v[40:41], v[2:3]
	s_waitcnt vmcnt(14)
	v_mul_f64 v[106:107], v[46:47], v[6:7]
	v_mul_f64 v[6:7], v[44:45], v[6:7]
	;; [unrolled: 3-line block ×5, first 2 shown]
	v_fma_f64 v[40:41], v[40:41], v[0:1], v[104:105]
	s_waitcnt vmcnt(10)
	v_mul_f64 v[104:105], v[62:63], v[22:23]
	v_mul_f64 v[22:23], v[60:61], v[22:23]
	v_fma_f64 v[42:43], v[42:43], v[0:1], -v[2:3]
	v_fma_f64 v[0:1], v[44:45], v[4:5], v[106:107]
	v_fma_f64 v[2:3], v[46:47], v[4:5], -v[6:7]
	v_fma_f64 v[4:5], v[48:49], v[8:9], v[108:109]
	v_fma_f64 v[6:7], v[50:51], v[8:9], -v[10:11]
	v_fma_f64 v[8:9], v[52:53], v[12:13], v[110:111]
	v_fma_f64 v[10:11], v[54:55], v[12:13], -v[14:15]
	s_waitcnt vmcnt(9)
	v_mul_f64 v[44:45], v[66:67], v[26:27]
	v_mul_f64 v[26:27], v[64:65], v[26:27]
	s_waitcnt vmcnt(8)
	v_mul_f64 v[46:47], v[70:71], v[30:31]
	v_mul_f64 v[30:31], v[68:69], v[30:31]
	s_waitcnt vmcnt(7)
	v_mul_f64 v[106:107], v[74:75], v[34:35]
	v_mul_f64 v[34:35], v[72:73], v[34:35]
	s_waitcnt vmcnt(6)
	v_mul_f64 v[114:115], v[78:79], v[38:39]
	v_mul_f64 v[38:39], v[76:77], v[38:39]
	v_fma_f64 v[12:13], v[56:57], v[16:17], v[112:113]
	v_fma_f64 v[14:15], v[58:59], v[16:17], -v[18:19]
	v_fma_f64 v[16:17], v[60:61], v[20:21], v[104:105]
	v_fma_f64 v[18:19], v[62:63], v[20:21], -v[22:23]
	s_waitcnt vmcnt(4)
	v_mul_f64 v[116:117], v[82:83], v[86:87]
	v_mul_f64 v[86:87], v[80:81], v[86:87]
	s_waitcnt vmcnt(2)
	v_mul_f64 v[118:119], v[90:91], v[94:95]
	v_mul_f64 v[94:95], v[88:89], v[94:95]
	;; [unrolled: 3-line block ×3, first 2 shown]
	v_fma_f64 v[20:21], v[64:65], v[24:25], v[44:45]
	v_fma_f64 v[22:23], v[66:67], v[24:25], -v[26:27]
	v_fma_f64 v[24:25], v[68:69], v[28:29], v[46:47]
	v_fma_f64 v[26:27], v[70:71], v[28:29], -v[30:31]
	;; [unrolled: 2-line block ×7, first 2 shown]
	ds_write_b128 v252, v[40:43]
	ds_write_b128 v252, v[0:3] offset:1920
	ds_write_b128 v252, v[4:7] offset:3840
	;; [unrolled: 1-line block ×12, first 2 shown]
.LBB0_3:
	s_or_b32 exec_lo, exec_lo, s1
	s_clause 0x1
	s_load_dwordx2 s[0:1], s[4:5], 0x20
	s_load_dwordx2 s[2:3], s[4:5], 0x8
	s_waitcnt lgkmcnt(0)
	s_barrier
	buffer_gl0_inv
                                        ; implicit-def: $vgpr8_vgpr9
                                        ; implicit-def: $vgpr52_vgpr53
                                        ; implicit-def: $vgpr48_vgpr49
                                        ; implicit-def: $vgpr44_vgpr45
                                        ; implicit-def: $vgpr40_vgpr41
                                        ; implicit-def: $vgpr36_vgpr37
                                        ; implicit-def: $vgpr32_vgpr33
                                        ; implicit-def: $vgpr28_vgpr29
                                        ; implicit-def: $vgpr24_vgpr25
                                        ; implicit-def: $vgpr20_vgpr21
                                        ; implicit-def: $vgpr16_vgpr17
                                        ; implicit-def: $vgpr12_vgpr13
                                        ; implicit-def: $vgpr4_vgpr5
	s_and_saveexec_b32 s4, vcc_lo
	s_cbranch_execz .LBB0_5
; %bb.4:
	ds_read_b128 v[8:11], v252
	ds_read_b128 v[52:55], v252 offset:1920
	ds_read_b128 v[48:51], v252 offset:3840
	;; [unrolled: 1-line block ×12, first 2 shown]
.LBB0_5:
	s_or_b32 exec_lo, exec_lo, s4
	s_waitcnt lgkmcnt(0)
	v_add_f64 v[98:99], v[54:55], -v[6:7]
	v_add_f64 v[64:65], v[52:53], -v[4:5]
	s_mov_b32 s10, 0x4267c47c
	s_mov_b32 s4, 0x42a4c3d2
	;; [unrolled: 1-line block ×6, first 2 shown]
	v_add_f64 v[60:61], v[52:53], v[4:5]
	v_add_f64 v[96:97], v[54:55], v[6:7]
	v_add_f64 v[80:81], v[50:51], -v[14:15]
	v_add_f64 v[66:67], v[48:49], -v[12:13]
	s_mov_b32 s8, 0xe00740e9
	s_mov_b32 s6, 0x1ea71119
	;; [unrolled: 1-line block ×10, first 2 shown]
	v_mul_f64 v[74:75], v[98:99], s[10:11]
	v_mul_f64 v[78:79], v[64:65], s[10:11]
	;; [unrolled: 1-line block ×6, first 2 shown]
	v_add_f64 v[56:57], v[48:49], v[12:13]
	v_add_f64 v[58:59], v[50:51], v[14:15]
	v_add_f64 v[72:73], v[46:47], -v[18:19]
	v_add_f64 v[70:71], v[44:45], -v[16:17]
	v_mul_f64 v[108:109], v[80:81], s[4:5]
	v_mul_f64 v[126:127], v[66:67], s[4:5]
	;; [unrolled: 1-line block ×6, first 2 shown]
	s_mov_b32 s24, 0xb2365da1
	s_mov_b32 s26, 0x93053d00
	s_mov_b32 s25, 0xbfd6b1d8
	s_mov_b32 s29, 0x3fedeba7
	s_mov_b32 s28, s20
	s_mov_b32 s27, 0xbfef11f4
	v_fma_f64 v[0:1], v[60:61], s[8:9], v[74:75]
	v_fma_f64 v[2:3], v[96:97], s[8:9], -v[78:79]
	v_fma_f64 v[88:89], v[60:61], s[6:7], v[164:165]
	v_fma_f64 v[102:103], v[96:97], s[6:7], -v[173:174]
	;; [unrolled: 2-line block ×3, first 2 shown]
	v_add_f64 v[62:63], v[44:45], v[16:17]
	v_add_f64 v[68:69], v[46:47], v[18:19]
	v_add_f64 v[92:93], v[40:41], -v[20:21]
	v_add_f64 v[84:85], v[42:43], -v[22:23]
	v_mul_f64 v[100:101], v[72:73], s[16:17]
	v_mul_f64 v[106:107], v[70:71], s[16:17]
	;; [unrolled: 1-line block ×4, first 2 shown]
	v_fma_f64 v[114:115], v[56:57], s[6:7], v[108:109]
	v_fma_f64 v[116:117], v[58:59], s[6:7], -v[126:127]
	v_fma_f64 v[118:119], v[56:57], s[24:25], v[120:121]
	v_fma_f64 v[124:125], v[58:59], s[24:25], -v[146:147]
	v_mul_f64 v[154:155], v[72:73], s[28:29]
	v_fma_f64 v[132:133], v[56:57], s[26:27], v[150:151]
	v_mul_f64 v[175:176], v[70:71], s[28:29]
	v_fma_f64 v[136:137], v[58:59], s[26:27], -v[179:180]
	v_add_f64 v[0:1], v[8:9], v[0:1]
	v_add_f64 v[2:3], v[10:11], v[2:3]
	;; [unrolled: 1-line block ×6, first 2 shown]
	s_mov_b32 s36, 0x24c2f84
	s_mov_b32 s37, 0x3fe5384d
	;; [unrolled: 1-line block ×4, first 2 shown]
	v_add_f64 v[76:77], v[40:41], v[20:21]
	v_add_f64 v[110:111], v[42:43], v[22:23]
	v_add_f64 v[82:83], v[36:37], -v[24:25]
	v_add_f64 v[90:91], v[38:39], -v[26:27]
	v_mul_f64 v[102:103], v[84:85], s[20:21]
	v_mul_f64 v[134:135], v[92:93], s[20:21]
	v_fma_f64 v[138:139], v[62:63], s[18:19], v[100:101]
	v_fma_f64 v[140:141], v[68:69], s[18:19], -v[106:107]
	v_mul_f64 v[144:145], v[84:85], s[36:37]
	v_mul_f64 v[166:167], v[92:93], s[36:37]
	v_fma_f64 v[156:157], v[62:63], s[24:25], v[154:155]
	v_mul_f64 v[171:172], v[84:85], s[38:39]
	v_add_f64 v[0:1], v[114:115], v[0:1]
	v_add_f64 v[2:3], v[116:117], v[2:3]
	v_fma_f64 v[114:115], v[62:63], s[26:27], v[122:123]
	v_fma_f64 v[116:117], v[68:69], s[26:27], -v[142:143]
	v_add_f64 v[118:119], v[118:119], v[128:129]
	v_add_f64 v[148:149], v[124:125], v[130:131]
	;; [unrolled: 1-line block ×3, first 2 shown]
	v_mul_f64 v[177:178], v[92:93], s[38:39]
	v_fma_f64 v[132:133], v[68:69], s[24:25], -v[175:176]
	v_add_f64 v[112:113], v[136:137], v[112:113]
	s_mov_b32 s30, 0xd0032e0c
	s_mov_b32 s41, 0xbfe5384d
	;; [unrolled: 1-line block ×6, first 2 shown]
	v_add_f64 v[86:87], v[36:37], v[24:25]
	v_add_f64 v[94:95], v[38:39], v[26:27]
	v_add_f64 v[88:89], v[32:33], -v[28:29]
	v_add_f64 v[128:129], v[34:35], -v[30:31]
	v_mul_f64 v[124:125], v[90:91], s[40:41]
	v_mul_f64 v[130:131], v[82:83], s[40:41]
	v_fma_f64 v[160:161], v[76:77], s[24:25], v[102:103]
	v_fma_f64 v[185:186], v[110:111], s[24:25], -v[134:135]
	v_add_f64 v[0:1], v[138:139], v[0:1]
	v_add_f64 v[2:3], v[140:141], v[2:3]
	;; [unrolled: 1-line block ×4, first 2 shown]
	v_fma_f64 v[118:119], v[76:77], s[30:31], v[144:145]
	v_fma_f64 v[138:139], v[110:111], s[30:31], -v[166:167]
	v_mul_f64 v[140:141], v[90:91], s[34:35]
	v_mul_f64 v[152:153], v[82:83], s[34:35]
	v_add_f64 v[187:188], v[156:157], v[104:105]
	v_fma_f64 v[189:190], v[76:77], s[8:9], v[171:172]
	v_fma_f64 v[191:192], v[110:111], s[8:9], -v[177:178]
	v_mul_f64 v[158:159], v[90:91], s[4:5]
	v_mul_f64 v[162:163], v[82:83], s[4:5]
	v_add_f64 v[112:113], v[132:133], v[112:113]
	v_add_f64 v[104:105], v[32:33], v[28:29]
	;; [unrolled: 1-line block ×3, first 2 shown]
	v_mul_f64 v[136:137], v[88:89], s[22:23]
	v_mul_f64 v[132:133], v[128:129], s[22:23]
	v_fma_f64 v[193:194], v[86:87], s[30:31], v[124:125]
	v_fma_f64 v[195:196], v[94:95], s[30:31], -v[130:131]
	v_mul_f64 v[148:149], v[88:89], s[38:39]
	v_mul_f64 v[156:157], v[128:129], s[40:41]
	v_add_f64 v[0:1], v[160:161], v[0:1]
	v_add_f64 v[2:3], v[185:186], v[2:3]
	v_mul_f64 v[160:161], v[88:89], s[40:41]
	v_mul_lo_u16 v168, v242, 13
	v_add_f64 v[114:115], v[118:119], v[114:115]
	v_add_f64 v[116:117], v[138:139], v[116:117]
	v_mul_f64 v[138:139], v[128:129], s[38:39]
	v_fma_f64 v[118:119], v[86:87], s[18:19], v[140:141]
	v_fma_f64 v[185:186], v[94:95], s[18:19], -v[152:153]
	v_add_f64 v[187:188], v[189:190], v[187:188]
	buffer_store_dword v168, off, s[48:51], 0 ; 4-byte Folded Spill
	v_fma_f64 v[189:190], v[86:87], s[6:7], v[158:159]
	v_fma_f64 v[197:198], v[94:95], s[6:7], -v[162:163]
	v_add_f64 v[112:113], v[191:192], v[112:113]
	s_waitcnt_vscnt null, 0x0
	s_barrier
	v_fma_f64 v[199:200], v[169:170], s[26:27], -v[136:137]
	v_fma_f64 v[191:192], v[104:105], s[26:27], v[132:133]
	buffer_gl0_inv
	v_fma_f64 v[203:204], v[169:170], s[8:9], -v[148:149]
	v_fma_f64 v[205:206], v[104:105], s[30:31], v[156:157]
	v_add_f64 v[0:1], v[193:194], v[0:1]
	v_add_f64 v[2:3], v[195:196], v[2:3]
	v_fma_f64 v[207:208], v[169:170], s[30:31], -v[160:161]
	v_fma_f64 v[201:202], v[104:105], s[8:9], v[138:139]
	v_add_f64 v[114:115], v[118:119], v[114:115]
	v_add_f64 v[118:119], v[185:186], v[116:117]
	v_add_f64 v[185:186], v[189:190], v[187:188]
	v_add_f64 v[187:188], v[197:198], v[112:113]
	v_add_f64 v[0:1], v[191:192], v[0:1]
	v_add_f64 v[2:3], v[199:200], v[2:3]
	v_add_f64 v[116:117], v[201:202], v[114:115]
	v_add_f64 v[118:119], v[203:204], v[118:119]
	v_add_f64 v[112:113], v[205:206], v[185:186]
	v_add_f64 v[114:115], v[207:208], v[187:188]
	s_and_saveexec_b32 s33, vcc_lo
	s_cbranch_execz .LBB0_7
; %bb.6:
	v_add_f64 v[54:55], v[10:11], v[54:55]
	v_add_f64 v[52:53], v[8:9], v[52:53]
	v_mul_f64 v[185:186], v[96:97], s[26:27]
	v_mul_f64 v[187:188], v[96:97], s[30:31]
	s_mov_b32 s43, 0x3fcea1e5
	s_mov_b32 s42, s22
	v_mul_f64 v[189:190], v[96:97], s[24:25]
	v_mul_f64 v[193:194], v[98:99], s[22:23]
	;; [unrolled: 1-line block ×9, first 2 shown]
	s_mov_b32 s45, 0x3fea55e2
	s_mov_b32 s44, s4
	v_mul_f64 v[199:200], v[96:97], s[6:7]
	v_mul_f64 v[98:99], v[98:99], s[20:21]
	;; [unrolled: 1-line block ×5, first 2 shown]
	v_add_f64 v[50:51], v[54:55], v[50:51]
	v_add_f64 v[48:49], v[52:53], v[48:49]
	v_fma_f64 v[225:226], v[64:65], s[42:43], v[185:186]
	v_fma_f64 v[231:232], v[64:65], s[36:37], v[187:188]
	;; [unrolled: 1-line block ×8, first 2 shown]
	v_mul_f64 v[52:53], v[96:97], s[8:9]
	v_mul_f64 v[54:55], v[60:61], s[6:7]
	;; [unrolled: 1-line block ×3, first 2 shown]
	v_mov_b32_e32 v168, v233
	v_fma_f64 v[233:234], v[60:61], s[30:31], v[197:198]
	v_add_f64 v[181:182], v[195:196], -v[181:182]
	v_fma_f64 v[195:196], v[60:61], s[30:31], -v[197:198]
	v_fma_f64 v[197:198], v[70:71], s[36:37], v[213:214]
	v_mul_f64 v[191:192], v[96:97], s[18:19]
	v_mul_f64 v[96:97], v[60:61], s[8:9]
	v_mul_f64 v[209:210], v[58:59], s[30:31]
	v_mul_f64 v[219:220], v[72:73], s[4:5]
	v_add_f64 v[46:47], v[50:51], v[46:47]
	v_add_f64 v[44:45], v[48:49], v[44:45]
	v_fma_f64 v[50:51], v[60:61], s[26:27], v[193:194]
	v_add_f64 v[225:226], v[10:11], v[225:226]
	v_add_f64 v[187:188], v[10:11], v[187:188]
	v_fma_f64 v[193:194], v[60:61], s[26:27], -v[193:194]
	v_mul_f64 v[48:49], v[94:95], s[24:25]
	v_mul_f64 v[229:230], v[94:95], s[8:9]
	v_fma_f64 v[203:204], v[66:67], s[38:39], v[203:204]
	v_fma_f64 v[249:250], v[66:67], s[16:17], v[207:208]
	v_add_f64 v[185:186], v[10:11], v[185:186]
	v_add_f64 v[231:232], v[10:11], v[231:232]
	v_mul_f64 v[207:208], v[84:85], s[44:45]
	v_add_f64 v[173:174], v[173:174], v[199:200]
	v_add_f64 v[233:234], v[8:9], v[233:234]
	v_fma_f64 v[199:200], v[62:63], s[30:31], v[215:216]
	v_add_f64 v[54:55], v[54:55], -v[164:165]
	v_add_f64 v[52:53], v[78:79], v[52:53]
	v_fma_f64 v[78:79], v[56:57], s[18:19], -v[211:212]
	v_fma_f64 v[164:165], v[92:93], s[4:5], v[221:222]
	v_mul_f64 v[201:202], v[58:59], s[26:27]
	v_mul_f64 v[227:228], v[90:91], s[20:21]
	v_add_f64 v[42:43], v[46:47], v[42:43]
	v_add_f64 v[40:41], v[44:45], v[40:41]
	v_fma_f64 v[44:45], v[56:57], s[8:9], v[205:206]
	v_add_f64 v[46:47], v[8:9], v[50:51]
	v_add_f64 v[225:226], v[247:248], v[225:226]
	v_fma_f64 v[247:248], v[70:71], s[44:45], v[217:218]
	v_fma_f64 v[217:218], v[70:71], s[4:5], v[217:218]
	v_fma_f64 v[50:51], v[56:57], s[8:9], -v[205:206]
	v_fma_f64 v[205:206], v[56:57], s[18:19], v[211:212]
	v_add_f64 v[193:194], v[8:9], v[193:194]
	v_mul_f64 v[237:238], v[68:69], s[8:9]
	v_mul_f64 v[243:244], v[56:57], s[6:7]
	v_add_f64 v[183:184], v[183:184], v[191:192]
	v_mul_f64 v[191:192], v[84:85], s[42:43]
	v_fma_f64 v[213:214], v[70:71], s[40:41], v[213:214]
	v_add_f64 v[185:186], v[203:204], v[185:186]
	v_mul_f64 v[80:81], v[80:81], s[36:37]
	v_mul_f64 v[239:240], v[68:69], s[24:25]
	v_add_f64 v[181:182], v[8:9], v[181:182]
	v_add_f64 v[54:55], v[8:9], v[54:55]
	v_mov_b32_e32 v251, v242
	v_mul_f64 v[241:242], v[110:111], s[18:19]
	v_add_f64 v[38:39], v[42:43], v[38:39]
	v_add_f64 v[36:37], v[40:41], v[36:37]
	;; [unrolled: 1-line block ×4, first 2 shown]
	v_fma_f64 v[42:43], v[60:61], s[24:25], v[98:99]
	v_fma_f64 v[60:61], v[60:61], s[24:25], -v[98:99]
	v_add_f64 v[98:99], v[8:9], v[195:196]
	v_fma_f64 v[195:196], v[92:93], s[42:43], v[223:224]
	v_add_f64 v[197:198], v[197:198], v[225:226]
	v_add_f64 v[50:51], v[50:51], v[193:194]
	v_add_f64 v[193:194], v[249:250], v[231:232]
	v_add_f64 v[203:204], v[205:206], v[233:234]
	v_fma_f64 v[205:206], v[76:77], s[6:7], v[207:208]
	v_fma_f64 v[187:188], v[92:93], s[44:45], v[221:222]
	;; [unrolled: 1-line block ×3, first 2 shown]
	v_add_f64 v[185:186], v[213:214], v[185:186]
	v_add_f64 v[108:109], v[243:244], -v[108:109]
	v_fma_f64 v[215:216], v[62:63], s[30:31], -v[215:216]
	v_fma_f64 v[46:47], v[62:63], s[6:7], v[219:220]
	v_add_f64 v[173:174], v[10:11], v[173:174]
	v_mul_f64 v[235:236], v[90:91], s[38:39]
	v_mul_f64 v[90:91], v[90:91], s[42:43]
	v_add_f64 v[34:35], v[38:39], v[34:35]
	v_add_f64 v[32:33], v[36:37], v[32:33]
	;; [unrolled: 1-line block ×4, first 2 shown]
	v_add_f64 v[38:39], v[96:97], -v[74:75]
	v_fma_f64 v[40:41], v[66:67], s[40:41], v[209:210]
	v_fma_f64 v[66:67], v[66:67], s[36:37], v[209:210]
	v_fma_f64 v[96:97], v[62:63], s[6:7], -v[219:220]
	v_add_f64 v[78:79], v[78:79], v[98:99]
	v_fma_f64 v[98:99], v[82:83], s[28:29], v[48:49]
	v_fma_f64 v[209:210], v[82:83], s[38:39], v[229:230]
	v_add_f64 v[164:165], v[164:165], v[197:198]
	v_add_f64 v[193:194], v[247:248], v[193:194]
	;; [unrolled: 1-line block ×3, first 2 shown]
	v_fma_f64 v[179:180], v[86:87], s[24:25], v[227:228]
	v_add_f64 v[42:43], v[8:9], v[42:43]
	v_add_f64 v[60:61], v[8:9], v[60:61]
	v_add_f64 v[185:186], v[187:188], v[185:186]
	v_mul_f64 v[84:85], v[84:85], s[16:17]
	v_fma_f64 v[48:49], v[82:83], s[20:21], v[48:49]
	v_fma_f64 v[207:208], v[76:77], s[6:7], -v[207:208]
	v_add_f64 v[50:51], v[215:216], v[50:51]
	v_add_f64 v[30:31], v[34:35], v[30:31]
	;; [unrolled: 1-line block ×6, first 2 shown]
	v_fma_f64 v[64:65], v[76:77], s[26:27], -v[191:192]
	v_add_f64 v[8:9], v[8:9], v[38:39]
	v_fma_f64 v[34:35], v[56:57], s[30:31], v[80:81]
	v_add_f64 v[78:79], v[96:97], v[78:79]
	v_add_f64 v[96:97], v[10:11], v[183:184]
	v_mul_f64 v[183:184], v[86:87], s[6:7]
	v_add_f64 v[38:39], v[98:99], v[164:165]
	v_mul_f64 v[164:165], v[62:63], s[18:19]
	v_add_f64 v[187:188], v[189:190], v[193:194]
	v_add_f64 v[189:190], v[10:11], v[245:246]
	;; [unrolled: 1-line block ×3, first 2 shown]
	v_mul_f64 v[175:176], v[62:63], s[26:27]
	v_add_f64 v[10:11], v[10:11], v[52:53]
	v_fma_f64 v[211:212], v[76:77], s[26:27], v[191:192]
	v_add_f64 v[46:47], v[46:47], v[203:204]
	v_mov_b32_e32 v233, v168
	v_add_f64 v[48:49], v[48:49], v[185:186]
	v_add_f64 v[26:27], v[30:31], v[26:27]
	;; [unrolled: 1-line block ×4, first 2 shown]
	v_mul_f64 v[30:31], v[58:59], s[24:25]
	v_add_f64 v[32:33], v[66:67], v[36:37]
	v_fma_f64 v[36:37], v[70:71], s[38:39], v[237:238]
	v_mul_f64 v[66:67], v[72:73], s[38:39]
	v_add_f64 v[44:45], v[179:180], v[44:45]
	v_add_f64 v[64:65], v[64:65], v[78:79]
	v_mul_f64 v[72:73], v[56:57], s[26:27]
	v_mul_f64 v[78:79], v[56:57], s[24:25]
	v_fma_f64 v[56:57], v[56:57], s[30:31], -v[80:81]
	v_mul_f64 v[80:81], v[110:111], s[8:9]
	v_add_f64 v[74:75], v[74:75], v[96:97]
	v_mul_f64 v[96:97], v[68:69], s[18:19]
	v_mul_f64 v[68:69], v[68:69], s[26:27]
	;; [unrolled: 1-line block ×3, first 2 shown]
	v_add_f64 v[100:101], v[164:165], -v[100:101]
	v_add_f64 v[8:9], v[108:109], v[8:9]
	v_fma_f64 v[70:71], v[70:71], s[10:11], v[237:238]
	v_add_f64 v[40:41], v[40:41], v[189:190]
	v_add_f64 v[34:35], v[34:35], v[42:43]
	v_fma_f64 v[42:43], v[92:93], s[34:35], v[241:242]
	v_fma_f64 v[92:93], v[92:93], s[16:17], v[241:242]
	v_mul_f64 v[58:59], v[58:59], s[6:7]
	v_add_f64 v[30:31], v[146:147], v[30:31]
	v_mul_f64 v[146:147], v[76:77], s[8:9]
	v_add_f64 v[32:33], v[36:37], v[32:33]
	v_fma_f64 v[36:37], v[62:63], s[8:9], v[66:67]
	v_fma_f64 v[62:63], v[62:63], s[8:9], -v[66:67]
	v_mul_f64 v[66:67], v[76:77], s[24:25]
	v_add_f64 v[72:73], v[72:73], -v[150:151]
	v_add_f64 v[78:79], v[78:79], -v[120:121]
	v_mul_f64 v[150:151], v[110:111], s[24:25]
	v_add_f64 v[80:81], v[177:178], v[80:81]
	v_mul_f64 v[177:178], v[86:87], s[30:31]
	v_add_f64 v[74:75], v[98:99], v[74:75]
	;; [unrolled: 2-line block ×4, first 2 shown]
	v_add_f64 v[96:97], v[106:107], v[96:97]
	v_add_f64 v[40:41], v[70:71], v[40:41]
	v_fma_f64 v[70:71], v[86:87], s[26:27], -v[90:91]
	v_add_f64 v[56:57], v[56:57], v[60:61]
	v_mul_f64 v[60:61], v[76:77], s[30:31]
	v_add_f64 v[58:59], v[126:127], v[58:59]
	v_add_f64 v[30:31], v[30:31], v[173:174]
	v_mul_f64 v[173:174], v[128:129], s[34:35]
	v_add_f64 v[32:33], v[92:93], v[32:33]
	v_add_f64 v[122:123], v[175:176], -v[122:123]
	v_add_f64 v[154:155], v[179:180], -v[154:155]
	;; [unrolled: 1-line block ×3, first 2 shown]
	v_add_f64 v[72:73], v[72:73], v[181:182]
	v_add_f64 v[54:55], v[78:79], v[54:55]
	;; [unrolled: 1-line block ×4, first 2 shown]
	v_mul_f64 v[142:143], v[94:95], s[18:19]
	v_add_f64 v[146:147], v[146:147], -v[171:172]
	v_add_f64 v[92:93], v[130:131], v[98:99]
	v_add_f64 v[98:99], v[177:178], -v[124:125]
	v_mul_f64 v[171:172], v[94:95], s[6:7]
	v_add_f64 v[110:111], v[166:167], v[110:111]
	v_mul_f64 v[94:95], v[94:95], s[26:27]
	v_add_f64 v[40:41], v[42:43], v[40:41]
	v_fma_f64 v[42:43], v[86:87], s[26:27], v[90:91]
	v_add_f64 v[134:135], v[134:135], v[150:151]
	v_mul_f64 v[126:127], v[86:87], s[18:19]
	v_add_f64 v[10:11], v[58:59], v[10:11]
	v_add_f64 v[30:31], v[68:69], v[30:31]
	v_fma_f64 v[68:69], v[104:105], s[18:19], v[173:174]
	v_add_f64 v[60:61], v[60:61], -v[144:145]
	v_add_f64 v[34:35], v[36:37], v[34:35]
	v_mul_f64 v[120:121], v[169:170], s[18:19]
	v_add_f64 v[8:9], v[66:67], v[8:9]
	v_add_f64 v[26:27], v[154:155], v[72:73]
	v_add_f64 v[24:25], v[122:123], v[54:55]
	v_add_f64 v[54:55], v[62:63], v[56:57]
	v_fma_f64 v[62:63], v[76:77], s[18:19], v[84:85]
	v_add_f64 v[18:19], v[22:23], v[18:19]
	v_add_f64 v[16:17], v[20:21], v[16:17]
	v_mul_f64 v[179:180], v[104:105], s[26:27]
	v_mul_f64 v[181:182], v[169:170], s[24:25]
	;; [unrolled: 1-line block ×6, first 2 shown]
	v_fma_f64 v[36:37], v[82:83], s[42:43], v[94:95]
	v_add_f64 v[72:73], v[162:163], v[171:172]
	v_add_f64 v[74:75], v[80:81], v[74:75]
	;; [unrolled: 1-line block ×3, first 2 shown]
	v_fma_f64 v[96:97], v[76:77], s[18:19], -v[84:85]
	v_add_f64 v[80:81], v[152:153], v[142:143]
	v_add_f64 v[30:31], v[110:111], v[30:31]
	v_mul_f64 v[106:107], v[104:105], s[8:9]
	v_add_f64 v[84:85], v[126:127], -v[140:141]
	v_add_f64 v[90:91], v[98:99], v[8:9]
	v_add_f64 v[8:9], v[68:69], v[44:45]
	buffer_load_dword v45, off, s[48:51], 0 ; 4-byte Folded Reload
	v_add_f64 v[20:21], v[60:61], v[24:25]
	v_mul_f64 v[164:165], v[104:105], s[30:31]
	v_add_f64 v[76:77], v[183:184], -v[158:159]
	v_add_f64 v[22:23], v[146:147], v[26:27]
	v_mul_f64 v[56:57], v[128:129], s[44:45]
	v_mul_f64 v[166:167], v[128:129], s[20:21]
	v_fma_f64 v[185:186], v[86:87], s[8:9], -v[235:236]
	v_fma_f64 v[199:200], v[86:87], s[24:25], -v[227:228]
	v_add_f64 v[50:51], v[207:208], v[50:51]
	v_fma_f64 v[201:202], v[82:83], s[10:11], v[229:230]
	v_fma_f64 v[203:204], v[86:87], s[8:9], v[235:236]
	v_add_f64 v[46:47], v[211:212], v[46:47]
	v_fma_f64 v[26:27], v[82:83], s[22:23], v[94:95]
	v_add_f64 v[10:11], v[134:135], v[10:11]
	v_add_f64 v[24:25], v[96:97], v[54:55]
	;; [unrolled: 1-line block ×5, first 2 shown]
	v_fma_f64 v[54:55], v[88:89], s[44:45], v[168:169]
	v_add_f64 v[32:33], v[36:37], v[32:33]
	v_add_f64 v[62:63], v[72:73], v[74:75]
	;; [unrolled: 1-line block ×4, first 2 shown]
	v_add_f64 v[82:83], v[179:180], -v[132:133]
	v_fma_f64 v[144:145], v[88:89], s[28:29], v[181:182]
	v_fma_f64 v[181:182], v[88:89], s[20:21], v[181:182]
	v_add_f64 v[58:59], v[148:149], v[58:59]
	v_add_f64 v[72:73], v[106:107], -v[138:139]
	v_add_f64 v[20:21], v[84:85], v[20:21]
	v_add_f64 v[60:61], v[160:161], v[108:109]
	v_add_f64 v[66:67], v[164:165], -v[156:157]
	v_add_f64 v[76:77], v[76:77], v[22:23]
	v_fma_f64 v[36:37], v[104:105], s[6:7], -v[56:57]
	v_fma_f64 v[150:151], v[104:105], s[24:25], v[166:167]
	v_fma_f64 v[166:167], v[104:105], s[24:25], -v[166:167]
	v_add_f64 v[80:81], v[92:93], v[10:11]
	v_add_f64 v[70:71], v[70:71], v[24:25]
	;; [unrolled: 1-line block ×4, first 2 shown]
	v_fma_f64 v[78:79], v[88:89], s[16:17], v[120:121]
	v_fma_f64 v[120:121], v[88:89], s[34:35], v[120:121]
	v_fma_f64 v[173:174], v[104:105], s[18:19], -v[173:174]
	v_add_f64 v[52:53], v[201:202], v[187:188]
	v_add_f64 v[46:47], v[203:204], v[46:47]
	v_fma_f64 v[84:85], v[88:89], s[4:5], v[168:169]
	v_add_f64 v[40:41], v[26:27], v[40:41]
	v_fma_f64 v[56:57], v[104:105], s[6:7], v[56:57]
	v_add_f64 v[88:89], v[42:43], v[34:35]
	v_add_f64 v[6:7], v[86:87], v[6:7]
	v_add_f64 v[4:5], v[16:17], v[4:5]
	v_add_f64 v[22:23], v[54:55], v[32:33]
	v_add_f64 v[32:33], v[82:83], v[90:91]
	v_add_f64 v[18:19], v[181:182], v[28:29]
	v_add_f64 v[30:31], v[58:59], v[30:31]
	v_add_f64 v[28:29], v[72:73], v[20:21]
	v_add_f64 v[26:27], v[60:61], v[62:63]
	v_add_f64 v[24:25], v[66:67], v[76:77]
	v_add_f64 v[34:35], v[74:75], v[80:81]
	v_add_f64 v[20:21], v[36:37], v[70:71]
	v_add_f64 v[16:17], v[166:167], v[64:65]
	v_mov_b32_e32 v44, 4
	v_add_f64 v[10:11], v[78:79], v[38:39]
	v_add_f64 v[14:15], v[120:121], v[48:49]
	;; [unrolled: 1-line block ×5, first 2 shown]
	v_mov_b32_e32 v242, v251
	v_add_f64 v[42:43], v[84:85], v[40:41]
	v_add_f64 v[40:41], v[56:57], v[88:89]
	s_waitcnt vmcnt(0)
	v_lshlrev_b32_sdwa v44, v44, v45 dst_sel:DWORD dst_unused:UNUSED_PAD src0_sel:DWORD src1_sel:WORD_0
	ds_write_b128 v44, v[4:7]
	ds_write_b128 v44, v[32:35] offset:16
	ds_write_b128 v44, v[28:31] offset:32
	;; [unrolled: 1-line block ×12, first 2 shown]
.LBB0_7:
	s_or_b32 exec_lo, exec_lo, s33
	v_and_b32_e32 v4, 0xff, v242
	s_load_dwordx4 s[4:7], s[0:1], 0x0
	v_add_co_u32 v80, s0, 0x9c, v242
	v_add_co_ci_u32_e64 v81, null, 0, 0, s0
	v_mul_lo_u16 v25, 0x4f, v4
	v_mov_b32_e32 v4, 0x4ec5
	v_add_co_u32 v82, s0, 0x138, v242
	v_add_co_ci_u32_e64 v83, null, 0, 0, s0
	v_lshrrev_b16 v92, 10, v25
	v_add_co_u32 v84, s0, 0x1d4, v242
	v_mul_u32_u24_sdwa v93, v80, v4 dst_sel:DWORD dst_unused:UNUSED_PAD src0_sel:WORD_0 src1_sel:DWORD
	v_add_co_u32 v94, null, 0x270, v242
	v_mul_u32_u24_sdwa v95, v82, v4 dst_sel:DWORD dst_unused:UNUSED_PAD src0_sel:WORD_0 src1_sel:DWORD
	v_mul_lo_u16 v5, v92, 13
	v_mul_u32_u24_sdwa v96, v84, v4 dst_sel:DWORD dst_unused:UNUSED_PAD src0_sel:WORD_0 src1_sel:DWORD
	v_lshrrev_b32_e32 v97, 18, v93
	v_mul_u32_u24_sdwa v98, v94, v4 dst_sel:DWORD dst_unused:UNUSED_PAD src0_sel:WORD_0 src1_sel:DWORD
	v_lshrrev_b32_e32 v99, 18, v95
	v_sub_nc_u16 v4, v242, v5
	v_lshrrev_b32_e32 v100, 18, v96
	v_mul_lo_u16 v5, v97, 13
	v_lshrrev_b32_e32 v101, 18, v98
	v_mul_lo_u16 v6, v99, 13
	v_and_b32_e32 v102, 0xff, v4
	v_mov_b32_e32 v24, 4
	v_mul_lo_u16 v4, v100, 13
	v_sub_nc_u16 v103, v80, v5
	v_mul_lo_u16 v5, v101, 13
	v_sub_nc_u16 v104, v82, v6
	v_lshlrev_b32_e32 v6, 4, v102
	v_sub_nc_u16 v105, v84, v4
	v_lshlrev_b32_sdwa v4, v24, v103 dst_sel:DWORD dst_unused:UNUSED_PAD src0_sel:DWORD src1_sel:WORD_0
	v_sub_nc_u16 v106, v94, v5
	s_waitcnt lgkmcnt(0)
	s_barrier
	buffer_gl0_inv
	v_lshlrev_b32_sdwa v5, v24, v104 dst_sel:DWORD dst_unused:UNUSED_PAD src0_sel:DWORD src1_sel:WORD_0
	s_clause 0x1
	global_load_dwordx4 v[9:12], v6, s[2:3]
	global_load_dwordx4 v[13:16], v4, s[2:3]
	v_lshlrev_b32_sdwa v6, v24, v105 dst_sel:DWORD dst_unused:UNUSED_PAD src0_sel:DWORD src1_sel:WORD_0
	v_lshlrev_b32_sdwa v4, v24, v106 dst_sel:DWORD dst_unused:UNUSED_PAD src0_sel:DWORD src1_sel:WORD_0
	s_clause 0x2
	global_load_dwordx4 v[17:20], v5, s[2:3]
	global_load_dwordx4 v[5:8], v6, s[2:3]
	global_load_dwordx4 v[247:250], v4, s[2:3]
	v_lshlrev_b32_sdwa v168, v24, v242 dst_sel:DWORD dst_unused:UNUSED_PAD src0_sel:DWORD src1_sel:WORD_0
	ds_read_b128 v[26:29], v168 offset:12480
	ds_read_b128 v[30:33], v168 offset:14976
	;; [unrolled: 1-line block ×6, first 2 shown]
	ds_read_b128 v[50:53], v168
	ds_read_b128 v[54:57], v168 offset:2496
	ds_read_b128 v[58:61], v168 offset:4992
	;; [unrolled: 1-line block ×3, first 2 shown]
	v_lshrrev_b16 v111, 11, v25
	v_lshrrev_b32_e32 v122, 19, v93
	v_lshrrev_b32_e32 v123, 19, v95
	;; [unrolled: 1-line block ×4, first 2 shown]
	v_add_co_ci_u32_e64 v85, null, 0, 0, s0
	s_mov_b32 s0, 0x134454ff
	s_mov_b32 s1, 0x3fee6f0e
	;; [unrolled: 1-line block ×12, first 2 shown]
	s_waitcnt vmcnt(4) lgkmcnt(9)
	v_mul_f64 v[66:67], v[28:29], v[11:12]
	s_waitcnt vmcnt(3) lgkmcnt(8)
	v_mul_f64 v[70:71], v[32:33], v[15:16]
	v_mul_f64 v[68:69], v[26:27], v[11:12]
	v_mul_f64 v[72:73], v[30:31], v[15:16]
	s_waitcnt vmcnt(2) lgkmcnt(7)
	v_mul_f64 v[74:75], v[36:37], v[19:20]
	s_waitcnt vmcnt(1) lgkmcnt(6)
	v_mul_f64 v[78:79], v[40:41], v[7:8]
	v_mul_f64 v[76:77], v[34:35], v[19:20]
	v_mul_f64 v[86:87], v[38:39], v[7:8]
	s_waitcnt vmcnt(0) lgkmcnt(5)
	v_mul_f64 v[88:89], v[44:45], v[249:250]
	v_mul_f64 v[90:91], v[42:43], v[249:250]
	v_fma_f64 v[26:27], v[26:27], v[9:10], -v[66:67]
	buffer_store_dword v9, off, s[48:51], 0 offset:20 ; 4-byte Folded Spill
	buffer_store_dword v10, off, s[48:51], 0 offset:24 ; 4-byte Folded Spill
	buffer_store_dword v11, off, s[48:51], 0 offset:28 ; 4-byte Folded Spill
	buffer_store_dword v12, off, s[48:51], 0 offset:32 ; 4-byte Folded Spill
	v_fma_f64 v[30:31], v[30:31], v[13:14], -v[70:71]
	buffer_store_dword v13, off, s[48:51], 0 offset:36 ; 4-byte Folded Spill
	buffer_store_dword v14, off, s[48:51], 0 offset:40 ; 4-byte Folded Spill
	buffer_store_dword v15, off, s[48:51], 0 offset:44 ; 4-byte Folded Spill
	buffer_store_dword v16, off, s[48:51], 0 offset:48 ; 4-byte Folded Spill
	;; [unrolled: 5-line block ×4, first 2 shown]
	v_fma_f64 v[42:43], v[42:43], v[247:248], -v[88:89]
	v_fma_f64 v[44:45], v[44:45], v[247:248], v[90:91]
	v_mul_lo_u16 v67, v111, 26
	v_mov_b32_e32 v66, 26
	v_mul_lo_u16 v70, v124, 26
	v_mul_lo_u16 v71, v125, 26
	s_waitcnt lgkmcnt(0)
	s_waitcnt_vscnt null, 0x0
	v_sub_nc_u16 v67, v242, v67
	v_mul_u32_u24_sdwa v66, v92, v66 dst_sel:DWORD dst_unused:UNUSED_PAD src0_sel:WORD_0 src1_sel:DWORD
	v_sub_nc_u16 v128, v84, v70
	v_sub_nc_u16 v129, v94, v71
	v_mad_u16 v70, v100, 26, v105
	v_and_b32_e32 v130, 0xff, v67
	v_mad_u16 v71, v101, 26, v106
	v_add_f64 v[26:27], v[50:51], -v[26:27]
	v_add_lshl_u32 v237, v66, v102, 4
	v_add_f64 v[30:31], v[54:55], -v[30:31]
	v_lshlrev_b32_e32 v66, 4, v130
	v_add_f64 v[34:35], v[58:59], -v[34:35]
	v_lshlrev_b32_sdwa v236, v24, v70 dst_sel:DWORD dst_unused:UNUSED_PAD src0_sel:DWORD src1_sel:WORD_0
	v_add_f64 v[38:39], v[62:63], -v[38:39]
	v_lshlrev_b32_sdwa v234, v24, v71 dst_sel:DWORD dst_unused:UNUSED_PAD src0_sel:DWORD src1_sel:WORD_0
	v_add_f64 v[42:43], v[46:47], -v[42:43]
	v_add_f64 v[44:45], v[48:49], -v[44:45]
	s_barrier
	buffer_gl0_inv
	v_fma_f64 v[50:51], v[50:51], 2.0, -v[26:27]
	v_fma_f64 v[54:55], v[54:55], 2.0, -v[30:31]
	;; [unrolled: 1-line block ×6, first 2 shown]
	v_fma_f64 v[28:29], v[28:29], v[9:10], v[68:69]
	v_mul_lo_u16 v68, v122, 26
	v_fma_f64 v[32:33], v[32:33], v[13:14], v[72:73]
	v_mul_lo_u16 v69, v123, 26
	v_fma_f64 v[36:37], v[36:37], v[17:18], v[76:77]
	v_fma_f64 v[40:41], v[40:41], v[5:6], v[86:87]
	v_sub_nc_u16 v126, v80, v68
	v_mad_u16 v68, v97, 26, v103
	v_sub_nc_u16 v127, v82, v69
	v_mad_u16 v69, v99, 26, v104
	v_lshrrev_b16 v86, 12, v25
	v_lshlrev_b32_sdwa v67, v24, v126 dst_sel:DWORD dst_unused:UNUSED_PAD src0_sel:DWORD src1_sel:WORD_0
	v_lshlrev_b32_sdwa v255, v24, v68 dst_sel:DWORD dst_unused:UNUSED_PAD src0_sel:DWORD src1_sel:WORD_0
	;; [unrolled: 1-line block ×4, first 2 shown]
	v_mov_b32_e32 v25, 52
	v_mul_u32_u24_sdwa v25, v111, v25 dst_sel:DWORD dst_unused:UNUSED_PAD src0_sel:WORD_0 src1_sel:DWORD
	v_add_f64 v[28:29], v[52:53], -v[28:29]
	v_add_f64 v[32:33], v[56:57], -v[32:33]
	;; [unrolled: 1-line block ×3, first 2 shown]
	v_add_lshl_u32 v243, v25, v130, 4
	v_add_f64 v[40:41], v[64:65], -v[40:41]
	v_fma_f64 v[52:53], v[52:53], 2.0, -v[28:29]
	v_fma_f64 v[56:57], v[56:57], 2.0, -v[32:33]
	;; [unrolled: 1-line block ×4, first 2 shown]
	ds_write_b128 v237, v[26:29] offset:208
	ds_write_b128 v237, v[50:53]
	ds_write_b128 v255, v[54:57]
	ds_write_b128 v255, v[30:33] offset:208
	ds_write_b128 v235, v[58:61]
	ds_write_b128 v235, v[34:37] offset:208
	;; [unrolled: 2-line block ×4, first 2 shown]
	s_waitcnt lgkmcnt(0)
	s_barrier
	buffer_gl0_inv
	s_clause 0x1
	global_load_dwordx4 v[12:15], v66, s[2:3] offset:208
	global_load_dwordx4 v[16:19], v67, s[2:3] offset:208
	v_lshlrev_b32_sdwa v26, v24, v128 dst_sel:DWORD dst_unused:UNUSED_PAD src0_sel:DWORD src1_sel:WORD_0
	v_lshlrev_b32_sdwa v27, v24, v129 dst_sel:DWORD dst_unused:UNUSED_PAD src0_sel:DWORD src1_sel:WORD_0
	s_clause 0x2
	global_load_dwordx4 v[44:47], v72, s[2:3] offset:208
	global_load_dwordx4 v[8:11], v26, s[2:3] offset:208
	;; [unrolled: 1-line block ×3, first 2 shown]
	ds_read_b128 v[48:51], v168 offset:12480
	ds_read_b128 v[52:55], v168 offset:14976
	;; [unrolled: 1-line block ×6, first 2 shown]
	ds_read_b128 v[72:75], v168
	ds_read_b128 v[76:79], v168 offset:2496
	ds_read_b128 v[87:90], v168 offset:4992
	;; [unrolled: 1-line block ×3, first 2 shown]
	s_waitcnt vmcnt(4) lgkmcnt(9)
	v_mul_f64 v[26:27], v[50:51], v[14:15]
	s_waitcnt vmcnt(3) lgkmcnt(8)
	v_mul_f64 v[97:98], v[54:55], v[18:19]
	v_mul_f64 v[95:96], v[48:49], v[14:15]
	;; [unrolled: 1-line block ×3, first 2 shown]
	s_waitcnt vmcnt(2) lgkmcnt(7)
	v_mul_f64 v[101:102], v[58:59], v[46:47]
	s_waitcnt vmcnt(1) lgkmcnt(6)
	v_mul_f64 v[105:106], v[62:63], v[10:11]
	;; [unrolled: 2-line block ×3, first 2 shown]
	v_mul_f64 v[107:108], v[60:61], v[10:11]
	v_mul_f64 v[120:121], v[64:65], v[6:7]
	;; [unrolled: 1-line block ×3, first 2 shown]
	v_fma_f64 v[26:27], v[48:49], v[12:13], -v[26:27]
	buffer_store_dword v12, off, s[48:51], 0 offset:116 ; 4-byte Folded Spill
	buffer_store_dword v13, off, s[48:51], 0 offset:120 ; 4-byte Folded Spill
	;; [unrolled: 1-line block ×4, first 2 shown]
	v_fma_f64 v[52:53], v[52:53], v[16:17], -v[97:98]
	buffer_store_dword v16, off, s[48:51], 0 offset:132 ; 4-byte Folded Spill
	buffer_store_dword v17, off, s[48:51], 0 offset:136 ; 4-byte Folded Spill
	;; [unrolled: 1-line block ×4, first 2 shown]
	v_fma_f64 v[56:57], v[56:57], v[44:45], -v[101:102]
	v_fma_f64 v[60:61], v[60:61], v[8:9], -v[105:106]
	buffer_store_dword v8, off, s[48:51], 0 offset:100 ; 4-byte Folded Spill
	buffer_store_dword v9, off, s[48:51], 0 offset:104 ; 4-byte Folded Spill
	;; [unrolled: 1-line block ×4, first 2 shown]
	v_fma_f64 v[64:65], v[64:65], v[4:5], -v[109:110]
	buffer_store_dword v4, off, s[48:51], 0 offset:84 ; 4-byte Folded Spill
	buffer_store_dword v5, off, s[48:51], 0 offset:88 ; 4-byte Folded Spill
	;; [unrolled: 1-line block ×4, first 2 shown]
	v_fma_f64 v[58:59], v[58:59], v[44:45], v[103:104]
	s_waitcnt lgkmcnt(0)
	s_waitcnt_vscnt null, 0x0
	s_barrier
	buffer_gl0_inv
	v_add_f64 v[48:49], v[72:73], -v[26:27]
	v_mul_lo_u16 v26, v86, 52
	v_add_f64 v[52:53], v[76:77], -v[52:53]
	v_mad_u16 v27, v122, 52, v126
	v_add_f64 v[56:57], v[87:88], -v[56:57]
	v_add_f64 v[60:61], v[91:92], -v[60:61]
	v_sub_nc_u16 v26, v242, v26
	v_add_f64 v[64:65], v[68:69], -v[64:65]
	v_lshlrev_b32_sdwa v251, v24, v27 dst_sel:DWORD dst_unused:UNUSED_PAD src0_sel:DWORD src1_sel:WORD_0
	v_add_f64 v[58:59], v[89:90], -v[58:59]
	v_fma_f64 v[72:73], v[72:73], 2.0, -v[48:49]
	v_fma_f64 v[76:77], v[76:77], 2.0, -v[52:53]
	;; [unrolled: 1-line block ×4, first 2 shown]
	v_fma_f64 v[50:51], v[50:51], v[12:13], v[95:96]
	v_fma_f64 v[95:96], v[87:88], 2.0, -v[56:57]
	v_fma_f64 v[54:55], v[54:55], v[16:17], v[99:100]
	v_fma_f64 v[88:89], v[91:92], 2.0, -v[60:61]
	v_mad_u16 v92, v124, 52, v128
	v_fma_f64 v[62:63], v[62:63], v[8:9], v[107:108]
	v_and_b32_e32 v87, 0xff, v26
	v_fma_f64 v[66:67], v[66:67], v[4:5], v[120:121]
	v_mad_u16 v99, v123, 52, v127
	v_lshlrev_b32_sdwa v239, v24, v92 dst_sel:DWORD dst_unused:UNUSED_PAD src0_sel:DWORD src1_sel:WORD_0
	v_lshlrev_b32_sdwa v241, v24, v99 dst_sel:DWORD dst_unused:UNUSED_PAD src0_sel:DWORD src1_sel:WORD_0
	v_add_f64 v[50:51], v[74:75], -v[50:51]
	v_add_f64 v[54:55], v[78:79], -v[54:55]
	;; [unrolled: 1-line block ×4, first 2 shown]
	v_fma_f64 v[74:75], v[74:75], 2.0, -v[50:51]
	v_fma_f64 v[78:79], v[78:79], 2.0, -v[54:55]
	;; [unrolled: 1-line block ×3, first 2 shown]
	v_mad_u16 v93, v125, 52, v129
	v_fma_f64 v[70:71], v[70:71], 2.0, -v[66:67]
	v_lshlrev_b32_sdwa v240, v24, v93 dst_sel:DWORD dst_unused:UNUSED_PAD src0_sel:DWORD src1_sel:WORD_0
	v_mad_u64_u32 v[92:93], null, 0x90, v87, s[2:3]
	ds_write_b128 v243, v[48:51] offset:416
	ds_write_b128 v243, v[72:75]
	ds_write_b128 v251, v[76:79]
	ds_write_b128 v251, v[52:55] offset:416
	ds_write_b128 v241, v[95:98]
	ds_write_b128 v241, v[56:59] offset:416
	;; [unrolled: 2-line block ×4, first 2 shown]
	s_waitcnt lgkmcnt(0)
	s_barrier
	buffer_gl0_inv
	s_clause 0x8
	global_load_dwordx4 v[48:51], v[92:93], off offset:656
	global_load_dwordx4 v[56:59], v[92:93], off offset:688
	;; [unrolled: 1-line block ×9, first 2 shown]
	ds_read_b128 v[88:91], v168 offset:7488
	ds_read_b128 v[92:95], v168 offset:12480
	;; [unrolled: 1-line block ×9, first 2 shown]
	ds_read_b128 v[132:135], v168
	s_waitcnt vmcnt(8) lgkmcnt(9)
	v_mul_f64 v[138:139], v[88:89], v[50:51]
	s_waitcnt vmcnt(7) lgkmcnt(8)
	v_mul_f64 v[140:141], v[94:95], v[58:59]
	v_mul_f64 v[142:143], v[92:93], v[58:59]
	s_waitcnt vmcnt(6) lgkmcnt(7)
	v_mul_f64 v[144:145], v[96:97], v[54:55]
	s_waitcnt vmcnt(4) lgkmcnt(5)
	v_mul_f64 v[152:153], v[106:107], v[6:7]
	v_mul_f64 v[154:155], v[104:105], v[6:7]
	;; [unrolled: 1-line block ×6, first 2 shown]
	s_waitcnt vmcnt(3) lgkmcnt(4)
	v_mul_f64 v[156:157], v[110:111], v[78:79]
	v_mul_f64 v[158:159], v[108:109], v[78:79]
	s_waitcnt vmcnt(2) lgkmcnt(3)
	v_mul_f64 v[160:161], v[122:123], v[74:75]
	v_mul_f64 v[162:163], v[120:121], v[74:75]
	s_waitcnt vmcnt(1) lgkmcnt(2)
	v_mul_f64 v[164:165], v[126:127], v[70:71]
	s_waitcnt vmcnt(0) lgkmcnt(1)
	v_mul_f64 v[166:167], v[130:131], v[66:67]
	v_mul_f64 v[169:170], v[124:125], v[70:71]
	;; [unrolled: 1-line block ×3, first 2 shown]
	v_fma_f64 v[90:91], v[90:91], v[48:49], v[138:139]
	v_fma_f64 v[92:93], v[92:93], v[56:57], -v[140:141]
	v_fma_f64 v[94:95], v[94:95], v[56:57], v[142:143]
	v_fma_f64 v[98:99], v[98:99], v[52:53], v[144:145]
	v_fma_f64 v[104:105], v[104:105], v[4:5], -v[152:153]
	buffer_store_dword v4, off, s[48:51], 0 offset:68 ; 4-byte Folded Spill
	buffer_store_dword v5, off, s[48:51], 0 offset:72 ; 4-byte Folded Spill
	;; [unrolled: 1-line block ×4, first 2 shown]
	v_fma_f64 v[102:103], v[102:103], v[60:61], v[146:147]
	v_fma_f64 v[96:97], v[96:97], v[52:53], -v[150:151]
	v_fma_f64 v[88:89], v[88:89], v[48:49], -v[136:137]
	;; [unrolled: 1-line block ×4, first 2 shown]
	v_fma_f64 v[110:111], v[110:111], v[76:77], v[158:159]
	v_fma_f64 v[120:121], v[120:121], v[72:73], -v[160:161]
	v_fma_f64 v[122:123], v[122:123], v[72:73], v[162:163]
	v_fma_f64 v[124:125], v[124:125], v[68:69], -v[164:165]
	v_fma_f64 v[128:129], v[128:129], v[64:65], -v[166:167]
	v_fma_f64 v[126:127], v[126:127], v[68:69], v[169:170]
	v_fma_f64 v[130:131], v[130:131], v[64:65], v[171:172]
	s_waitcnt lgkmcnt(0)
	s_waitcnt_vscnt null, 0x0
	s_barrier
	buffer_gl0_inv
	v_add_f64 v[177:178], v[90:91], -v[94:95]
	v_add_f64 v[136:137], v[94:95], v[98:99]
	v_add_f64 v[181:182], v[94:95], -v[90:91]
	v_add_f64 v[138:139], v[90:91], v[102:103]
	v_add_f64 v[142:143], v[92:93], v[96:97]
	v_add_f64 v[152:153], v[90:91], -v[102:103]
	v_add_f64 v[140:141], v[88:89], v[100:101]
	v_add_f64 v[156:157], v[88:89], -v[100:101]
	v_add_f64 v[158:159], v[92:93], -v[96:97]
	;; [unrolled: 1-line block ×4, first 2 shown]
	v_add_f64 v[144:145], v[120:121], v[124:125]
	v_add_f64 v[146:147], v[108:109], v[128:129]
	;; [unrolled: 1-line block ×4, first 2 shown]
	v_add_f64 v[173:174], v[92:93], -v[88:89]
	v_add_f64 v[175:176], v[96:97], -v[100:101]
	;; [unrolled: 1-line block ×4, first 2 shown]
	v_add_f64 v[160:161], v[132:133], v[108:109]
	v_add_f64 v[166:167], v[134:135], v[110:111]
	;; [unrolled: 1-line block ×3, first 2 shown]
	v_add_f64 v[162:163], v[108:109], -v[120:121]
	v_add_f64 v[164:165], v[128:129], -v[124:125]
	;; [unrolled: 1-line block ×4, first 2 shown]
	v_fma_f64 v[142:143], v[142:143], -0.5, v[104:105]
	v_add_f64 v[197:198], v[120:121], -v[124:125]
	v_fma_f64 v[140:141], v[140:141], -0.5, v[104:105]
	v_add_f64 v[104:105], v[120:121], -v[108:109]
	v_add_f64 v[108:109], v[108:109], -v[128:129]
	;; [unrolled: 1-line block ×4, first 2 shown]
	v_fma_f64 v[144:145], v[144:145], -0.5, v[132:133]
	v_fma_f64 v[132:133], v[146:147], -0.5, v[132:133]
	;; [unrolled: 1-line block ×4, first 2 shown]
	v_add_f64 v[148:149], v[169:170], v[171:172]
	v_add_f64 v[150:151], v[173:174], v[175:176]
	;; [unrolled: 1-line block ×5, first 2 shown]
	v_add_f64 v[110:111], v[122:123], -v[110:111]
	v_add_f64 v[88:89], v[88:89], v[92:93]
	v_add_f64 v[203:204], v[126:127], -v[130:131]
	v_fma_f64 v[195:196], v[152:153], s[10:11], v[142:143]
	v_fma_f64 v[142:143], v[152:153], s[0:1], v[142:143]
	;; [unrolled: 1-line block ×3, first 2 shown]
	v_add_f64 v[120:121], v[120:121], v[124:125]
	v_add_f64 v[88:89], v[88:89], v[96:97]
	;; [unrolled: 1-line block ×3, first 2 shown]
	v_fma_f64 v[92:93], v[187:188], s[18:19], v[92:93]
	v_add_f64 v[120:121], v[120:121], v[128:129]
	v_add_f64 v[100:101], v[88:89], v[100:101]
	;; [unrolled: 1-line block ×3, first 2 shown]
	v_fma_f64 v[106:107], v[106:107], v[4:5], v[154:155]
	v_add_f64 v[154:155], v[94:95], -v[98:99]
	v_fma_f64 v[136:137], v[136:137], -0.5, v[106:107]
	v_fma_f64 v[138:139], v[138:139], -0.5, v[106:107]
	v_fma_f64 v[193:194], v[154:155], s[0:1], v[140:141]
	v_fma_f64 v[140:141], v[154:155], s[10:11], v[140:141]
	v_add_f64 v[90:91], v[106:107], v[90:91]
	v_add_f64 v[106:107], v[124:125], -v[128:129]
	v_fma_f64 v[179:180], v[154:155], s[16:17], v[195:196]
	v_fma_f64 v[142:143], v[154:155], s[18:19], v[142:143]
	;; [unrolled: 1-line block ×10, first 2 shown]
	v_add_f64 v[104:105], v[104:105], v[106:107]
	v_add_f64 v[106:107], v[166:167], v[122:123]
	;; [unrolled: 1-line block ×4, first 2 shown]
	v_fma_f64 v[94:95], v[185:186], s[10:11], v[144:145]
	v_fma_f64 v[122:123], v[187:188], s[10:11], v[132:133]
	;; [unrolled: 1-line block ×7, first 2 shown]
	v_add_f64 v[148:149], v[199:200], v[201:202]
	v_fma_f64 v[173:174], v[158:159], s[16:17], v[189:190]
	v_fma_f64 v[175:176], v[156:157], s[16:17], v[191:192]
	;; [unrolled: 1-line block ×6, first 2 shown]
	v_add_f64 v[106:107], v[106:107], v[126:127]
	v_add_f64 v[90:91], v[90:91], v[98:99]
	v_fma_f64 v[126:127], v[108:109], s[16:17], v[154:155]
	v_fma_f64 v[108:109], v[108:109], s[18:19], v[134:135]
	v_fma_f64 v[96:97], v[185:186], s[18:19], v[122:123]
	v_fma_f64 v[98:99], v[185:186], s[16:17], v[132:133]
	v_fma_f64 v[122:123], v[197:198], s[16:17], v[144:145]
	v_fma_f64 v[124:125], v[197:198], s[18:19], v[146:147]
	v_mul_f64 v[146:147], v[162:163], s[20:21]
	v_mul_f64 v[150:151], v[142:143], s[16:17]
	v_fma_f64 v[94:95], v[187:188], s[16:17], v[94:95]
	v_fma_f64 v[128:129], v[152:153], s[8:9], v[92:93]
	v_add_f64 v[92:93], v[120:121], -v[100:101]
	v_fma_f64 v[156:157], v[169:170], s[8:9], v[173:174]
	v_fma_f64 v[158:159], v[171:172], s[8:9], v[175:176]
	;; [unrolled: 1-line block ×4, first 2 shown]
	v_mul_f64 v[144:145], v[160:161], s[8:9]
	v_mul_f64 v[154:155], v[140:141], s[10:11]
	v_add_f64 v[106:107], v[106:107], v[130:131]
	v_add_f64 v[102:103], v[90:91], v[102:103]
	v_fma_f64 v[171:172], v[110:111], s[8:9], v[126:127]
	v_fma_f64 v[173:174], v[110:111], s[8:9], v[108:109]
	;; [unrolled: 1-line block ×7, first 2 shown]
	v_mul_f64 v[132:133], v[156:157], s[18:19]
	v_mul_f64 v[134:135], v[158:159], s[0:1]
	;; [unrolled: 1-line block ×4, first 2 shown]
	v_add_f64 v[90:91], v[106:107], v[102:103]
	v_add_f64 v[94:95], v[106:107], -v[102:103]
	v_fma_f64 v[124:125], v[142:143], s[20:21], v[132:133]
	v_fma_f64 v[126:127], v[140:141], s[8:9], v[134:135]
	v_fma_f64 v[134:135], v[136:137], s[18:19], -v[146:147]
	v_fma_f64 v[136:137], v[156:157], s[20:21], v[150:151]
	v_fma_f64 v[132:133], v[138:139], s[0:1], -v[144:145]
	;; [unrolled: 2-line block ×3, first 2 shown]
	v_fma_f64 v[142:143], v[162:163], s[16:17], -v[166:167]
	v_mov_b32_e32 v144, 0x208
	v_cmp_gt_u16_e64 s0, 52, v242
	v_mul_u32_u24_sdwa v86, v86, v144 dst_sel:DWORD dst_unused:UNUSED_PAD src0_sel:WORD_0 src1_sel:DWORD
	v_add_lshl_u32 v223, v86, v87, 4
	v_add_f64 v[96:97], v[128:129], v[124:125]
	v_add_f64 v[100:101], v[152:153], v[126:127]
	;; [unrolled: 1-line block ×8, first 2 shown]
	v_add_f64 v[124:125], v[128:129], -v[124:125]
	v_add_f64 v[128:129], v[152:153], -v[126:127]
	;; [unrolled: 1-line block ×8, first 2 shown]
	ds_write_b128 v223, v[88:91]
	ds_write_b128 v223, v[92:95] offset:4160
	ds_write_b128 v223, v[96:99] offset:832
	;; [unrolled: 1-line block ×9, first 2 shown]
	s_waitcnt lgkmcnt(0)
	s_barrier
	buffer_gl0_inv
	ds_read_b128 v[128:131], v168
	ds_read_b128 v[124:127], v168 offset:2496
	ds_read_b128 v[148:151], v168 offset:16640
	;; [unrolled: 1-line block ×8, first 2 shown]
	s_and_saveexec_b32 s1, s0
	s_cbranch_execz .LBB0_9
; %bb.8:
	ds_read_b128 v[120:123], v168 offset:7488
	ds_read_b128 v[112:115], v168 offset:15808
	;; [unrolled: 1-line block ×3, first 2 shown]
.LBB0_9:
	s_or_b32 exec_lo, exec_lo, s1
	v_lshlrev_b32_e32 v86, 5, v242
	v_lshlrev_b64 v[80:81], 5, v[80:81]
	s_mov_b32 s9, 0xbfebb67a
	v_add_co_u32 v88, s1, s2, v86
	v_add_co_ci_u32_e64 v89, null, s3, 0, s1
	v_add_co_u32 v86, s1, 0x1fb0, v88
	v_add_co_ci_u32_e64 v87, s1, 0, v89, s1
	v_add_co_u32 v90, s1, s2, v80
	v_add_co_ci_u32_e64 v91, s1, s3, v81, s1
	;; [unrolled: 2-line block ×5, first 2 shown]
	v_add_co_u32 v104, s1, 0xffffffcc, v242
	v_add_co_ci_u32_e64 v105, null, 0, -1, s1
	s_clause 0x1
	global_load_dwordx4 v[96:99], v[80:81], off offset:1968
	global_load_dwordx4 v[100:103], v[86:87], off offset:16
	v_lshlrev_b64 v[80:81], 5, v[82:83]
	v_cndmask_b32_e64 v82, v104, v84, s0
	v_cndmask_b32_e64 v83, v105, v85, s0
	s_clause 0x1
	global_load_dwordx4 v[88:91], v[88:89], off offset:1968
	global_load_dwordx4 v[92:95], v[92:93], off offset:16
	v_add_co_u32 v84, s1, s2, v80
	v_add_co_ci_u32_e64 v85, s1, s3, v81, s1
	v_lshlrev_b64 v[80:81], 5, v[82:83]
	v_add_co_u32 v82, s1, 0x1fb0, v84
	v_add_co_ci_u32_e64 v83, s1, 0, v85, s1
	v_add_co_u32 v86, s1, s2, v80
	v_add_co_ci_u32_e64 v87, s1, s3, v81, s1
	;; [unrolled: 2-line block ×5, first 2 shown]
	s_clause 0x3
	global_load_dwordx4 v[104:107], v[80:81], off offset:1968
	global_load_dwordx4 v[108:111], v[82:83], off offset:16
	;; [unrolled: 1-line block ×4, first 2 shown]
	s_mov_b32 s2, 0xe8584caa
	s_mov_b32 s3, 0x3febb67a
	;; [unrolled: 1-line block ×3, first 2 shown]
	s_waitcnt vmcnt(7) lgkmcnt(4)
	v_mul_f64 v[160:161], v[158:159], v[98:99]
	v_mul_f64 v[162:163], v[156:157], v[98:99]
	s_waitcnt vmcnt(6)
	v_mul_f64 v[164:165], v[150:151], v[102:103]
	v_mul_f64 v[166:167], v[148:149], v[102:103]
	s_waitcnt vmcnt(5) lgkmcnt(2)
	v_mul_f64 v[169:170], v[154:155], v[90:91]
	s_waitcnt vmcnt(4)
	v_mul_f64 v[171:172], v[138:139], v[94:95]
	v_mul_f64 v[173:174], v[152:153], v[90:91]
	;; [unrolled: 1-line block ×3, first 2 shown]
	v_fma_f64 v[156:157], v[156:157], v[96:97], -v[160:161]
	v_fma_f64 v[158:159], v[158:159], v[96:97], v[162:163]
	v_fma_f64 v[148:149], v[148:149], v[100:101], -v[164:165]
	v_fma_f64 v[150:151], v[150:151], v[100:101], v[166:167]
	v_fma_f64 v[152:153], v[152:153], v[88:89], -v[169:170]
	v_fma_f64 v[136:137], v[136:137], v[92:93], -v[171:172]
	v_fma_f64 v[154:155], v[154:155], v[88:89], v[173:174]
	v_fma_f64 v[138:139], v[138:139], v[92:93], v[175:176]
	s_waitcnt vmcnt(3) lgkmcnt(1)
	v_mul_f64 v[177:178], v[142:143], v[106:107]
	s_waitcnt vmcnt(2) lgkmcnt(0)
	v_mul_f64 v[179:180], v[146:147], v[110:111]
	v_mul_f64 v[181:182], v[140:141], v[106:107]
	;; [unrolled: 1-line block ×3, first 2 shown]
	s_waitcnt vmcnt(1)
	v_mul_f64 v[185:186], v[114:115], v[82:83]
	s_waitcnt vmcnt(0)
	v_mul_f64 v[187:188], v[118:119], v[86:87]
	v_mul_f64 v[189:190], v[112:113], v[82:83]
	;; [unrolled: 1-line block ×3, first 2 shown]
	v_add_f64 v[171:172], v[128:129], v[156:157]
	v_add_f64 v[160:161], v[156:157], v[148:149]
	;; [unrolled: 1-line block ×3, first 2 shown]
	v_add_f64 v[175:176], v[158:159], -v[150:151]
	v_add_f64 v[164:165], v[152:153], v[136:137]
	v_add_f64 v[158:159], v[130:131], v[158:159]
	v_add_f64 v[166:167], v[154:155], v[138:139]
	v_add_f64 v[193:194], v[152:153], -v[136:137]
	v_fma_f64 v[140:141], v[140:141], v[104:105], -v[177:178]
	v_fma_f64 v[144:145], v[144:145], v[108:109], -v[179:180]
	v_fma_f64 v[142:143], v[142:143], v[104:105], v[181:182]
	v_fma_f64 v[146:147], v[146:147], v[108:109], v[183:184]
	v_fma_f64 v[112:113], v[112:113], v[80:81], -v[185:186]
	v_fma_f64 v[116:117], v[116:117], v[84:85], -v[187:188]
	v_fma_f64 v[114:115], v[114:115], v[80:81], v[189:190]
	v_fma_f64 v[118:119], v[118:119], v[84:85], v[191:192]
	v_add_f64 v[181:182], v[156:157], -v[148:149]
	v_add_f64 v[156:157], v[124:125], v[152:153]
	v_add_f64 v[183:184], v[126:127], v[154:155]
	v_add_f64 v[154:155], v[154:155], -v[138:139]
	v_fma_f64 v[160:161], v[160:161], -0.5, v[128:129]
	v_fma_f64 v[162:163], v[162:163], -0.5, v[130:131]
	;; [unrolled: 1-line block ×4, first 2 shown]
	v_add_f64 v[185:186], v[132:133], v[140:141]
	v_add_f64 v[169:170], v[140:141], v[144:145]
	;; [unrolled: 1-line block ×8, first 2 shown]
	v_add_f64 v[195:196], v[142:143], -v[146:147]
	v_add_f64 v[197:198], v[140:141], -v[144:145]
	;; [unrolled: 1-line block ×4, first 2 shown]
	v_add_f64 v[156:157], v[156:157], v[136:137]
	v_fma_f64 v[164:165], v[175:176], s[2:3], v[160:161]
	v_fma_f64 v[160:161], v[175:176], s[8:9], v[160:161]
	;; [unrolled: 1-line block ×5, first 2 shown]
	v_add_f64 v[140:141], v[185:186], v[144:145]
	v_fma_f64 v[132:133], v[169:170], -0.5, v[132:133]
	v_add_f64 v[142:143], v[187:188], v[146:147]
	v_fma_f64 v[134:135], v[173:174], -0.5, v[134:135]
	;; [unrolled: 2-line block ×4, first 2 shown]
	v_add_f64 v[122:123], v[158:159], v[150:151]
	v_add_f64 v[158:159], v[183:184], v[138:139]
	;; [unrolled: 1-line block ×3, first 2 shown]
	v_fma_f64 v[148:149], v[154:155], s[8:9], v[124:125]
	v_fma_f64 v[154:155], v[193:194], s[8:9], v[126:127]
	;; [unrolled: 1-line block ×11, first 2 shown]
	ds_write_b128 v168, v[120:123]
	ds_write_b128 v168, v[164:167] offset:8320
	ds_write_b128 v168, v[160:163] offset:16640
	;; [unrolled: 1-line block ×8, first 2 shown]
	s_and_saveexec_b32 s1, s0
	s_cbranch_execz .LBB0_11
; %bb.10:
	ds_write_b128 v168, v[128:131] offset:7488
	ds_write_b128 v168, v[132:135] offset:15808
	;; [unrolled: 1-line block ×3, first 2 shown]
.LBB0_11:
	s_or_b32 exec_lo, exec_lo, s1
	s_waitcnt lgkmcnt(0)
	s_barrier
	buffer_gl0_inv
	s_and_saveexec_b32 s2, vcc_lo
	s_cbranch_execz .LBB0_13
; %bb.12:
	v_add_co_u32 v116, s1, s14, v252
	v_add_co_ci_u32_e64 v117, null, s15, 0, s1
	v_add_co_u32 v112, s1, 0x6000, v116
	v_add_co_ci_u32_e64 v113, s1, 0, v117, s1
	v_add_co_u32 v118, s1, 0x6180, v116
	v_add_co_ci_u32_e64 v119, s1, 0, v117, s1
	global_load_dwordx4 v[112:115], v[112:113], off offset:384
	v_add_co_u32 v173, s1, 0x7000, v116
	v_add_co_ci_u32_e64 v174, s1, 0, v117, s1
	s_clause 0x1
	global_load_dwordx4 v[169:172], v[118:119], off offset:1920
	global_load_dwordx4 v[173:176], v[173:174], off offset:128
	v_add_co_u32 v118, s1, 0x7800, v116
	v_add_co_ci_u32_e64 v119, s1, 0, v117, s1
	s_clause 0x1
	global_load_dwordx4 v[177:180], v[118:119], off
	global_load_dwordx4 v[181:184], v[118:119], off offset:1920
	v_add_co_u32 v118, s1, 0x8000, v116
	v_add_co_ci_u32_e64 v119, s1, 0, v117, s1
	v_add_co_u32 v189, s1, 0x8800, v116
	v_add_co_ci_u32_e64 v190, s1, 0, v117, s1
	s_clause 0x1
	global_load_dwordx4 v[185:188], v[118:119], off offset:1792
	global_load_dwordx4 v[189:192], v[189:190], off offset:1664
	v_add_co_u32 v118, s1, 0x9000, v116
	v_add_co_ci_u32_e64 v119, s1, 0, v117, s1
	v_add_co_u32 v197, s1, 0x9800, v116
	v_add_co_ci_u32_e64 v198, s1, 0, v117, s1
	s_clause 0x1
	global_load_dwordx4 v[193:196], v[118:119], off offset:1536
	global_load_dwordx4 v[197:200], v[197:198], off offset:1408
	v_add_co_u32 v118, s1, 0xa000, v116
	v_add_co_ci_u32_e64 v119, s1, 0, v117, s1
	global_load_dwordx4 v[201:204], v[118:119], off offset:1280
	v_add_co_u32 v118, s1, 0xa800, v116
	v_add_co_ci_u32_e64 v119, s1, 0, v117, s1
	v_add_co_u32 v209, s1, 0xb000, v116
	v_add_co_ci_u32_e64 v210, s1, 0, v117, s1
	;; [unrolled: 2-line block ×3, first 2 shown]
	s_clause 0x2
	global_load_dwordx4 v[205:208], v[118:119], off offset:1152
	global_load_dwordx4 v[116:119], v[209:210], off offset:1024
	;; [unrolled: 1-line block ×3, first 2 shown]
	ds_read_b128 v[213:216], v168
	s_waitcnt vmcnt(12) lgkmcnt(0)
	v_mul_f64 v[217:218], v[215:216], v[114:115]
	v_mul_f64 v[114:115], v[213:214], v[114:115]
	v_fma_f64 v[213:214], v[213:214], v[112:113], -v[217:218]
	v_fma_f64 v[215:216], v[215:216], v[112:113], v[114:115]
	ds_write_b128 v168, v[213:216]
	ds_read_b128 v[112:115], v252 offset:1920
	ds_read_b128 v[213:216], v252 offset:3840
	ds_read_b128 v[217:220], v252 offset:5760
	ds_read_b128 v[225:228], v252 offset:7680
	s_waitcnt vmcnt(11) lgkmcnt(3)
	v_mul_f64 v[221:222], v[114:115], v[171:172]
	v_mul_f64 v[171:172], v[112:113], v[171:172]
	s_waitcnt vmcnt(10) lgkmcnt(2)
	v_mul_f64 v[229:230], v[215:216], v[175:176]
	v_mul_f64 v[175:176], v[213:214], v[175:176]
	v_fma_f64 v[112:113], v[112:113], v[169:170], -v[221:222]
	s_waitcnt vmcnt(9) lgkmcnt(1)
	v_mul_f64 v[221:222], v[219:220], v[179:180]
	v_fma_f64 v[114:115], v[114:115], v[169:170], v[171:172]
	v_mul_f64 v[179:180], v[217:218], v[179:180]
	v_fma_f64 v[169:170], v[213:214], v[173:174], -v[229:230]
	s_waitcnt vmcnt(8) lgkmcnt(0)
	v_mul_f64 v[229:230], v[227:228], v[183:184]
	v_mul_f64 v[183:184], v[225:226], v[183:184]
	v_fma_f64 v[171:172], v[215:216], v[173:174], v[175:176]
	ds_read_b128 v[173:176], v252 offset:9600
	ds_read_b128 v[213:216], v252 offset:11520
	v_fma_f64 v[217:218], v[217:218], v[177:178], -v[221:222]
	v_fma_f64 v[219:220], v[219:220], v[177:178], v[179:180]
	s_waitcnt vmcnt(7) lgkmcnt(1)
	v_mul_f64 v[221:222], v[175:176], v[187:188]
	v_mul_f64 v[187:188], v[173:174], v[187:188]
	s_waitcnt vmcnt(6) lgkmcnt(0)
	v_mul_f64 v[231:232], v[215:216], v[191:192]
	v_fma_f64 v[177:178], v[225:226], v[181:182], -v[229:230]
	v_fma_f64 v[179:180], v[227:228], v[181:182], v[183:184]
	ds_read_b128 v[181:184], v252 offset:13440
	ds_read_b128 v[225:228], v252 offset:15360
	v_mul_f64 v[191:192], v[213:214], v[191:192]
	v_fma_f64 v[173:174], v[173:174], v[185:186], -v[221:222]
	v_fma_f64 v[175:176], v[175:176], v[185:186], v[187:188]
	v_fma_f64 v[185:186], v[213:214], v[189:190], -v[231:232]
	s_waitcnt vmcnt(5) lgkmcnt(1)
	v_mul_f64 v[221:222], v[183:184], v[195:196]
	v_mul_f64 v[195:196], v[181:182], v[195:196]
	s_waitcnt vmcnt(4) lgkmcnt(0)
	v_mul_f64 v[229:230], v[227:228], v[199:200]
	v_mul_f64 v[199:200], v[225:226], v[199:200]
	v_fma_f64 v[187:188], v[215:216], v[189:190], v[191:192]
	ds_read_b128 v[189:192], v252 offset:17280
	ds_read_b128 v[213:216], v252 offset:19200
	v_fma_f64 v[181:182], v[181:182], v[193:194], -v[221:222]
	v_fma_f64 v[183:184], v[183:184], v[193:194], v[195:196]
	v_fma_f64 v[193:194], v[225:226], v[197:198], -v[229:230]
	s_waitcnt vmcnt(3) lgkmcnt(1)
	v_mul_f64 v[221:222], v[191:192], v[203:204]
	ds_read_b128 v[229:232], v252 offset:21120
	v_fma_f64 v[195:196], v[227:228], v[197:198], v[199:200]
	ds_read_b128 v[197:200], v252 offset:23040
	v_mul_f64 v[203:204], v[189:190], v[203:204]
	s_waitcnt vmcnt(2) lgkmcnt(2)
	v_mul_f64 v[225:226], v[215:216], v[207:208]
	v_mul_f64 v[207:208], v[213:214], v[207:208]
	v_fma_f64 v[189:190], v[189:190], v[201:202], -v[221:222]
	s_waitcnt vmcnt(1) lgkmcnt(1)
	v_mul_f64 v[221:222], v[231:232], v[118:119]
	v_mul_f64 v[118:119], v[229:230], v[118:119]
	s_waitcnt vmcnt(0) lgkmcnt(0)
	v_mul_f64 v[227:228], v[199:200], v[211:212]
	v_mul_f64 v[211:212], v[197:198], v[211:212]
	v_fma_f64 v[191:192], v[191:192], v[201:202], v[203:204]
	v_fma_f64 v[201:202], v[213:214], v[205:206], -v[225:226]
	v_fma_f64 v[203:204], v[215:216], v[205:206], v[207:208]
	v_fma_f64 v[205:206], v[229:230], v[116:117], -v[221:222]
	;; [unrolled: 2-line block ×3, first 2 shown]
	v_fma_f64 v[118:119], v[199:200], v[209:210], v[211:212]
	ds_write_b128 v252, v[112:115] offset:1920
	ds_write_b128 v252, v[169:172] offset:3840
	ds_write_b128 v252, v[217:220] offset:5760
	ds_write_b128 v252, v[177:180] offset:7680
	ds_write_b128 v252, v[173:176] offset:9600
	ds_write_b128 v252, v[185:188] offset:11520
	ds_write_b128 v252, v[181:184] offset:13440
	ds_write_b128 v252, v[193:196] offset:15360
	ds_write_b128 v252, v[189:192] offset:17280
	ds_write_b128 v252, v[201:204] offset:19200
	ds_write_b128 v252, v[205:208] offset:21120
	ds_write_b128 v252, v[116:119] offset:23040
.LBB0_13:
	s_or_b32 exec_lo, exec_lo, s2
	s_waitcnt lgkmcnt(0)
	s_barrier
	buffer_gl0_inv
	s_and_saveexec_b32 s1, vcc_lo
	s_cbranch_execz .LBB0_15
; %bb.14:
	ds_read_b128 v[120:123], v168
	ds_read_b128 v[164:167], v168 offset:1920
	ds_read_b128 v[160:163], v168 offset:3840
	;; [unrolled: 1-line block ×12, first 2 shown]
.LBB0_15:
	s_or_b32 exec_lo, exec_lo, s1
	s_waitcnt lgkmcnt(0)
	v_add_f64 v[187:188], v[166:167], -v[2:3]
	s_mov_b32 s10, 0x42a4c3d2
	s_mov_b32 s11, 0xbfea55e2
	v_add_f64 v[185:186], v[164:165], v[0:1]
	v_add_f64 v[171:172], v[162:163], -v[126:127]
	v_add_f64 v[229:230], v[166:167], v[2:3]
	s_mov_b32 s2, 0x1ea71119
	s_mov_b32 s8, 0x2ef20147
	;; [unrolled: 1-line block ×4, first 2 shown]
	v_add_f64 v[169:170], v[160:161], v[124:125]
	v_add_f64 v[231:232], v[164:165], -v[0:1]
	v_add_f64 v[175:176], v[162:163], v[126:127]
	s_mov_b32 s16, 0xb2365da1
	s_mov_b32 s17, 0xbfd6b1d8
	v_add_f64 v[183:184], v[160:161], -v[124:125]
	v_add_f64 v[181:182], v[158:159], -v[134:135]
	v_add_f64 v[173:174], v[156:157], v[132:133]
	v_add_f64 v[179:180], v[158:159], v[134:135]
	s_mov_b32 s18, 0x93053d00
	s_mov_b32 s19, 0xbfef11f4
	v_add_f64 v[205:206], v[156:157], -v[132:133]
	v_mul_f64 v[226:227], v[187:188], s[10:11]
	v_add_f64 v[197:198], v[154:155], -v[130:131]
	s_mov_b32 s28, 0x24c2f84
	s_mov_b32 s29, 0x3fe5384d
	v_mul_f64 v[245:246], v[171:172], s[8:9]
	v_mul_f64 v[253:254], v[229:230], s[2:3]
	v_add_f64 v[177:178], v[152:153], v[128:129]
	v_add_f64 v[193:194], v[154:155], v[130:131]
	s_mov_b32 s20, 0xd0032e0c
	s_mov_b32 s21, 0xbfe7f3cc
	v_add_f64 v[207:208], v[152:153], -v[128:129]
	v_add_f64 v[211:212], v[150:151], -v[138:139]
	v_mul_f64 v[6:7], v[175:176], s[16:17]
	s_mov_b32 s34, 0x66966769
	s_mov_b32 s35, 0xbfefc445
	;; [unrolled: 1-line block ×3, first 2 shown]
	v_mul_f64 v[4:5], v[181:182], s[22:23]
	s_mov_b32 s30, s34
	v_mul_f64 v[10:11], v[179:180], s[18:19]
	v_add_f64 v[191:192], v[148:149], v[136:137]
	v_add_f64 v[199:200], v[150:151], v[138:139]
	s_mov_b32 s24, 0xebaa3ed8
	v_fma_f64 v[112:113], v[185:186], s[2:3], -v[226:227]
	v_mul_f64 v[8:9], v[197:198], s[28:29]
	s_mov_b32 s25, 0x3fbedb7d
	v_add_f64 v[215:216], v[148:149], -v[136:137]
	v_fma_f64 v[114:115], v[169:170], s[16:17], -v[245:246]
	v_fma_f64 v[116:117], v[231:232], s[10:11], v[253:254]
	v_add_f64 v[195:196], v[142:143], -v[146:147]
	v_mul_f64 v[12:13], v[193:194], s[20:21]
	s_mov_b32 s41, 0x3fddbe06
	s_mov_b32 s40, 0x4267c47c
	v_add_f64 v[189:190], v[140:141], v[144:145]
	v_mul_f64 v[14:15], v[211:212], s[30:31]
	v_add_f64 v[201:202], v[142:143], v[146:147]
	s_mov_b32 s26, 0xe00740e9
	s_mov_b32 s27, 0x3fec55a7
	v_add_f64 v[203:204], v[140:141], -v[144:145]
	v_mul_f64 v[219:220], v[187:188], s[34:35]
	v_mul_f64 v[22:23], v[171:172], s[22:23]
	;; [unrolled: 1-line block ×5, first 2 shown]
	s_mov_b32 s39, 0x3fedeba7
	v_add_f64 v[112:113], v[120:121], v[112:113]
	s_mov_b32 s38, s8
	v_mul_f64 v[32:33], v[179:180], s[16:17]
	v_mul_f64 v[20:21], v[181:182], s[38:39]
	;; [unrolled: 1-line block ×5, first 2 shown]
	s_mov_b32 s37, 0xbfe5384d
	s_mov_b32 s36, s28
	v_mul_f64 v[34:35], v[195:196], s[36:37]
	s_barrier
	v_mul_f64 v[26:27], v[201:202], s[26:27]
	buffer_gl0_inv
	v_fma_f64 v[118:119], v[169:170], s[18:19], -v[22:23]
	v_fma_f64 v[209:210], v[183:184], s[22:23], v[24:25]
	v_add_f64 v[112:113], v[114:115], v[112:113]
	v_add_f64 v[114:115], v[122:123], v[116:117]
	v_fma_f64 v[116:117], v[183:184], s[8:9], v[6:7]
	v_add_f64 v[114:115], v[116:117], v[114:115]
	v_fma_f64 v[116:117], v[173:174], s[18:19], -v[4:5]
	v_add_f64 v[112:113], v[116:117], v[112:113]
	v_fma_f64 v[116:117], v[205:206], s[22:23], v[10:11]
	v_add_f64 v[114:115], v[116:117], v[114:115]
	v_fma_f64 v[116:117], v[177:178], s[20:21], -v[8:9]
	;; [unrolled: 4-line block ×5, first 2 shown]
	v_add_f64 v[116:117], v[120:121], v[116:117]
	v_add_f64 v[116:117], v[118:119], v[116:117]
	v_fma_f64 v[118:119], v[231:232], s[34:35], v[221:222]
	v_add_f64 v[118:119], v[122:123], v[118:119]
	v_add_f64 v[118:119], v[209:210], v[118:119]
	v_fma_f64 v[209:210], v[173:174], s[16:17], -v[20:21]
	v_add_f64 v[116:117], v[209:210], v[116:117]
	v_fma_f64 v[209:210], v[205:206], s[38:39], v[32:33]
	v_add_f64 v[118:119], v[209:210], v[118:119]
	v_fma_f64 v[209:210], v[177:178], s[26:27], -v[30:31]
	v_add_f64 v[116:117], v[209:210], v[116:117]
	v_mul_f64 v[209:210], v[193:194], s[26:27]
	v_fma_f64 v[213:214], v[207:208], s[40:41], v[209:210]
	v_add_f64 v[118:119], v[213:214], v[118:119]
	v_fma_f64 v[213:214], v[191:192], s[2:3], -v[28:29]
	v_add_f64 v[116:117], v[213:214], v[116:117]
	v_mul_f64 v[213:214], v[199:200], s[2:3]
	;; [unrolled: 5-line block ×3, first 2 shown]
	v_fma_f64 v[224:225], v[203:204], s[36:37], v[217:218]
	v_add_f64 v[118:119], v[224:225], v[118:119]
	s_and_saveexec_b32 s1, vcc_lo
	s_cbranch_execz .LBB0_17
; %bb.16:
	v_add_f64 v[166:167], v[122:123], v[166:167]
	v_add_f64 v[164:165], v[120:121], v[164:165]
	v_mov_b32_e32 v38, v241
	v_mov_b32_e32 v241, v233
	;; [unrolled: 1-line block ×5, first 2 shown]
	v_mul_f64 v[237:238], v[203:204], s[30:31]
	v_mov_b32_e32 v37, v239
	v_mov_b32_e32 v228, v240
	v_mul_f64 v[239:240], v[195:196], s[30:31]
	v_mov_b32_e32 v244, v235
	v_mov_b32_e32 v36, v236
	v_add_f64 v[162:163], v[166:167], v[162:163]
	v_add_f64 v[160:161], v[164:165], v[160:161]
	v_mul_f64 v[164:165], v[187:188], s[22:23]
	v_mul_f64 v[166:167], v[187:188], s[36:37]
	v_add_f64 v[158:159], v[162:163], v[158:159]
	v_add_f64 v[156:157], v[160:161], v[156:157]
	v_fma_f64 v[224:225], v[185:186], s[20:21], -v[166:167]
	v_fma_f64 v[166:167], v[185:186], s[20:21], v[166:167]
	v_add_f64 v[154:155], v[158:159], v[154:155]
	v_add_f64 v[152:153], v[156:157], v[152:153]
	;; [unrolled: 1-line block ×5, first 2 shown]
	v_mul_f64 v[152:153], v[231:232], s[8:9]
	v_add_f64 v[142:143], v[150:151], v[142:143]
	v_add_f64 v[140:141], v[148:149], v[140:141]
	v_mul_f64 v[148:149], v[231:232], s[22:23]
	v_mul_f64 v[150:151], v[231:232], s[36:37]
	v_fma_f64 v[160:161], v[229:230], s[16:17], v[152:153]
	v_fma_f64 v[152:153], v[229:230], s[16:17], -v[152:153]
	v_add_f64 v[142:143], v[142:143], v[146:147]
	v_add_f64 v[140:141], v[140:141], v[144:145]
	v_mul_f64 v[144:145], v[181:182], s[40:41]
	v_mul_f64 v[146:147], v[211:212], s[40:41]
	v_fma_f64 v[156:157], v[229:230], s[18:19], v[148:149]
	v_fma_f64 v[148:149], v[229:230], s[18:19], -v[148:149]
	v_fma_f64 v[158:159], v[229:230], s[20:21], v[150:151]
	v_fma_f64 v[150:151], v[229:230], s[20:21], -v[150:151]
	v_add_f64 v[160:161], v[122:123], v[160:161]
	v_add_f64 v[152:153], v[122:123], v[152:153]
	;; [unrolled: 1-line block ×4, first 2 shown]
	v_mul_f64 v[140:141], v[215:216], s[40:41]
	v_mul_f64 v[142:143], v[205:206], s[40:41]
	v_add_f64 v[156:157], v[122:123], v[156:157]
	v_add_f64 v[148:149], v[122:123], v[148:149]
	;; [unrolled: 1-line block ×6, first 2 shown]
	v_mul_f64 v[136:137], v[207:208], s[40:41]
	v_mul_f64 v[138:139], v[203:204], s[40:41]
	v_add_f64 v[130:131], v[130:131], v[134:135]
	v_add_f64 v[128:129], v[128:129], v[132:133]
	v_mul_f64 v[132:133], v[183:184], s[40:41]
	v_mul_f64 v[134:135], v[171:172], s[40:41]
	s_mov_b32 s41, 0xbfddbe06
	v_add_f64 v[138:139], v[26:27], -v[138:139]
	v_mul_f64 v[154:155], v[231:232], s[40:41]
	v_add_f64 v[136:137], v[209:210], -v[136:137]
	v_add_f64 v[126:127], v[130:131], v[126:127]
	v_add_f64 v[124:125], v[128:129], v[124:125]
	v_mul_f64 v[130:131], v[185:186], s[24:25]
	v_mul_f64 v[128:129], v[185:186], s[2:3]
	v_fma_f64 v[162:163], v[229:230], s[26:27], -v[154:155]
	v_fma_f64 v[154:155], v[229:230], s[26:27], v[154:155]
	v_add_f64 v[2:3], v[126:127], v[2:3]
	v_add_f64 v[0:1], v[124:125], v[0:1]
	v_mul_f64 v[124:125], v[231:232], s[34:35]
	v_add_f64 v[130:131], v[130:131], v[219:220]
	v_mul_f64 v[219:220], v[187:188], s[8:9]
	v_mul_f64 v[187:188], v[187:188], s[40:41]
	;; [unrolled: 1-line block ×3, first 2 shown]
	v_add_f64 v[128:129], v[128:129], v[226:227]
	v_add_f64 v[162:163], v[122:123], v[162:163]
	;; [unrolled: 1-line block ×3, first 2 shown]
	s_mov_b32 s41, 0x3fea55e2
	s_mov_b32 s40, s10
	v_add_f64 v[124:125], v[221:222], -v[124:125]
	v_fma_f64 v[221:222], v[185:186], s[18:19], -v[164:165]
	v_fma_f64 v[164:165], v[185:186], s[18:19], v[164:165]
	v_fma_f64 v[229:230], v[185:186], s[16:17], -v[219:220]
	v_fma_f64 v[219:220], v[185:186], s[16:17], v[219:220]
	v_fma_f64 v[231:232], v[185:186], s[26:27], v[187:188]
	v_fma_f64 v[185:186], v[185:186], s[26:27], -v[187:188]
	v_add_f64 v[126:127], v[253:254], -v[126:127]
	v_add_f64 v[128:129], v[120:121], v[128:129]
	v_add_f64 v[226:227], v[120:121], v[130:131]
	;; [unrolled: 1-line block ×10, first 2 shown]
	v_fma_f64 v[120:121], v[175:176], s[26:27], v[132:133]
	v_mul_f64 v[124:125], v[205:206], s[36:37]
	v_add_f64 v[253:254], v[122:123], v[126:127]
	v_fma_f64 v[122:123], v[169:170], s[26:27], -v[134:135]
	v_fma_f64 v[132:133], v[175:176], s[26:27], -v[132:133]
	v_fma_f64 v[134:135], v[169:170], s[26:27], v[134:135]
	v_add_f64 v[120:121], v[120:121], v[156:157]
	v_fma_f64 v[126:127], v[179:180], s[20:21], v[124:125]
	v_fma_f64 v[124:125], v[179:180], s[20:21], -v[124:125]
	v_add_f64 v[122:123], v[122:123], v[187:188]
	v_add_f64 v[132:133], v[132:133], v[148:149]
	;; [unrolled: 1-line block ×3, first 2 shown]
	v_mul_f64 v[148:149], v[173:174], s[18:19]
	v_mul_f64 v[164:165], v[177:178], s[20:21]
	v_add_f64 v[120:121], v[126:127], v[120:121]
	v_mul_f64 v[126:127], v[181:182], s[36:37]
	v_add_f64 v[124:125], v[124:125], v[132:133]
	v_fma_f64 v[132:133], v[189:190], s[24:25], v[239:240]
	v_add_f64 v[148:149], v[148:149], v[4:5]
	v_add_f64 v[164:165], v[164:165], v[8:9]
	v_fma_f64 v[130:131], v[173:174], s[20:21], -v[126:127]
	v_fma_f64 v[126:127], v[173:174], s[20:21], v[126:127]
	v_add_f64 v[122:123], v[130:131], v[122:123]
	v_mul_f64 v[130:131], v[207:208], s[40:41]
	v_add_f64 v[126:127], v[126:127], v[134:135]
	v_mul_f64 v[134:135], v[205:206], s[22:23]
	v_fma_f64 v[156:157], v[193:194], s[2:3], v[130:131]
	v_fma_f64 v[130:131], v[193:194], s[2:3], -v[130:131]
	v_add_f64 v[134:135], v[10:11], -v[134:135]
	v_add_f64 v[120:121], v[156:157], v[120:121]
	v_mul_f64 v[156:157], v[197:198], s[40:41]
	v_add_f64 v[124:125], v[130:131], v[124:125]
	v_fma_f64 v[187:188], v[177:178], s[2:3], -v[156:157]
	v_fma_f64 v[130:131], v[177:178], s[2:3], v[156:157]
	v_mul_f64 v[156:157], v[207:208], s[28:29]
	v_add_f64 v[122:123], v[187:188], v[122:123]
	v_mul_f64 v[187:188], v[215:216], s[8:9]
	v_add_f64 v[126:127], v[130:131], v[126:127]
	v_add_f64 v[156:157], v[12:13], -v[156:157]
	v_fma_f64 v[233:234], v[199:200], s[16:17], v[187:188]
	v_fma_f64 v[130:131], v[199:200], s[16:17], -v[187:188]
	v_mul_f64 v[187:188], v[191:192], s[2:3]
	v_add_f64 v[120:121], v[233:234], v[120:121]
	v_mul_f64 v[233:234], v[211:212], s[8:9]
	v_add_f64 v[124:125], v[130:131], v[124:125]
	v_add_f64 v[187:188], v[187:188], v[28:29]
	v_fma_f64 v[130:131], v[191:192], s[16:17], v[233:234]
	v_fma_f64 v[235:236], v[191:192], s[16:17], -v[233:234]
	v_add_f64 v[130:131], v[130:131], v[126:127]
	v_fma_f64 v[126:127], v[201:202], s[24:25], -v[237:238]
	v_add_f64 v[235:236], v[235:236], v[122:123]
	v_fma_f64 v[122:123], v[201:202], s[24:25], v[237:238]
	v_add_f64 v[126:127], v[126:127], v[124:125]
	v_add_f64 v[124:125], v[132:133], v[130:131]
	v_mul_f64 v[130:131], v[183:184], s[8:9]
	v_mul_f64 v[132:133], v[169:170], s[16:17]
	v_add_f64 v[122:123], v[122:123], v[120:121]
	v_fma_f64 v[120:121], v[189:190], s[24:25], -v[239:240]
	v_mov_b32_e32 v240, v228
	v_add_f64 v[130:131], v[6:7], -v[130:131]
	v_add_f64 v[132:133], v[132:133], v[245:246]
	v_add_f64 v[120:121], v[120:121], v[235:236]
	;; [unrolled: 1-line block ×4, first 2 shown]
	v_mul_f64 v[132:133], v[215:216], s[30:31]
	v_add_f64 v[130:131], v[134:135], v[130:131]
	v_add_f64 v[128:129], v[148:149], v[128:129]
	v_mul_f64 v[134:135], v[191:192], s[24:25]
	v_add_f64 v[132:133], v[16:17], -v[132:133]
	v_mul_f64 v[148:149], v[189:190], s[26:27]
	v_add_f64 v[130:131], v[156:157], v[130:131]
	v_add_f64 v[128:129], v[164:165], v[128:129]
	;; [unrolled: 1-line block ×3, first 2 shown]
	v_mul_f64 v[156:157], v[177:178], s[26:27]
	v_add_f64 v[148:149], v[148:149], v[18:19]
	v_mul_f64 v[164:165], v[215:216], s[10:11]
	v_add_f64 v[130:131], v[132:133], v[130:131]
	;; [unrolled: 2-line block ×4, first 2 shown]
	v_add_f64 v[164:165], v[213:214], -v[164:165]
	v_add_f64 v[130:131], v[138:139], v[130:131]
	v_add_f64 v[132:133], v[24:25], -v[132:133]
	v_add_f64 v[128:129], v[148:149], v[128:129]
	v_add_f64 v[134:135], v[134:135], v[22:23]
	v_mul_f64 v[138:139], v[205:206], s[38:39]
	v_mul_f64 v[148:149], v[173:174], s[16:17]
	v_add_f64 v[132:133], v[132:133], v[229:230]
	v_mul_f64 v[228:229], v[203:204], s[22:23]
	v_add_f64 v[134:135], v[134:135], v[226:227]
	v_add_f64 v[138:139], v[32:33], -v[138:139]
	v_add_f64 v[148:149], v[148:149], v[20:21]
	v_add_f64 v[132:133], v[138:139], v[132:133]
	;; [unrolled: 1-line block ×3, first 2 shown]
	v_mul_f64 v[138:139], v[203:204], s[36:37]
	v_add_f64 v[132:133], v[136:137], v[132:133]
	v_add_f64 v[134:135], v[156:157], v[134:135]
	v_mul_f64 v[136:137], v[189:190], s[20:21]
	v_add_f64 v[138:139], v[217:218], -v[138:139]
	v_mul_f64 v[156:157], v[171:172], s[10:11]
	v_add_f64 v[132:133], v[164:165], v[132:133]
	v_add_f64 v[148:149], v[187:188], v[134:135]
	;; [unrolled: 1-line block ×4, first 2 shown]
	v_fma_f64 v[138:139], v[169:170], s[2:3], v[156:157]
	v_add_f64 v[132:133], v[136:137], v[148:149]
	v_mul_f64 v[148:149], v[183:184], s[10:11]
	v_fma_f64 v[156:157], v[169:170], s[2:3], -v[156:157]
	v_add_f64 v[138:139], v[138:139], v[231:232]
	v_mul_f64 v[230:231], v[195:196], s[22:23]
	v_fma_f64 v[136:137], v[175:176], s[2:3], -v[148:149]
	s_mov_b32 s23, 0x3fcea1e5
	v_fma_f64 v[148:149], v[175:176], s[2:3], v[148:149]
	v_add_f64 v[156:157], v[156:157], v[185:186]
	v_add_f64 v[136:137], v[136:137], v[162:163]
	v_mul_f64 v[162:163], v[205:206], s[34:35]
	v_add_f64 v[148:149], v[148:149], v[154:155]
	v_fma_f64 v[164:165], v[179:180], s[24:25], -v[162:163]
	v_fma_f64 v[162:163], v[179:180], s[24:25], v[162:163]
	v_add_f64 v[136:137], v[164:165], v[136:137]
	v_mul_f64 v[164:165], v[181:182], s[34:35]
	v_add_f64 v[148:149], v[162:163], v[148:149]
	v_fma_f64 v[187:188], v[173:174], s[24:25], v[164:165]
	v_fma_f64 v[154:155], v[173:174], s[24:25], -v[164:165]
	v_add_f64 v[138:139], v[187:188], v[138:139]
	v_mul_f64 v[187:188], v[207:208], s[8:9]
	v_add_f64 v[154:155], v[154:155], v[156:157]
	v_fma_f64 v[209:210], v[193:194], s[16:17], -v[187:188]
	v_fma_f64 v[164:165], v[193:194], s[16:17], v[187:188]
	v_add_f64 v[136:137], v[209:210], v[136:137]
	v_mul_f64 v[209:210], v[197:198], s[8:9]
	v_add_f64 v[148:149], v[164:165], v[148:149]
	v_fma_f64 v[213:214], v[177:178], s[16:17], v[209:210]
	v_add_f64 v[138:139], v[213:214], v[138:139]
	v_mul_f64 v[213:214], v[215:216], s[36:37]
	v_mul_f64 v[215:216], v[215:216], s[22:23]
	v_fma_f64 v[217:218], v[199:200], s[20:21], -v[213:214]
	v_add_f64 v[136:137], v[217:218], v[136:137]
	v_mul_f64 v[217:218], v[211:212], s[36:37]
	v_mul_f64 v[211:212], v[211:212], s[22:23]
	v_fma_f64 v[226:227], v[191:192], s[20:21], v[217:218]
	v_fma_f64 v[164:165], v[191:192], s[20:21], -v[217:218]
	v_add_f64 v[226:227], v[226:227], v[138:139]
	v_fma_f64 v[138:139], v[201:202], s[18:19], -v[228:229]
	v_add_f64 v[138:139], v[138:139], v[136:137]
	v_fma_f64 v[136:137], v[189:190], s[18:19], v[230:231]
	v_add_f64 v[136:137], v[136:137], v[226:227]
	v_mul_f64 v[226:227], v[183:184], s[28:29]
	v_mul_f64 v[183:184], v[183:184], s[30:31]
	v_fma_f64 v[232:233], v[175:176], s[20:21], -v[226:227]
	v_add_f64 v[152:153], v[232:233], v[152:153]
	v_mul_f64 v[232:233], v[171:172], s[28:29]
	v_mul_f64 v[171:172], v[171:172], s[30:31]
	v_fma_f64 v[234:235], v[169:170], s[20:21], v[232:233]
	v_add_f64 v[219:220], v[234:235], v[219:220]
	v_fma_f64 v[234:235], v[179:180], s[26:27], -v[142:143]
	v_fma_f64 v[142:143], v[179:180], s[26:27], v[142:143]
	v_add_f64 v[152:153], v[234:235], v[152:153]
	v_fma_f64 v[234:235], v[173:174], s[26:27], v[144:145]
	v_fma_f64 v[144:145], v[173:174], s[26:27], -v[144:145]
	v_add_f64 v[219:220], v[234:235], v[219:220]
	v_mul_f64 v[234:235], v[207:208], s[34:35]
	v_fma_f64 v[236:237], v[193:194], s[24:25], -v[234:235]
	v_add_f64 v[152:153], v[236:237], v[152:153]
	v_mul_f64 v[236:237], v[197:198], s[34:35]
	v_mul_f64 v[197:198], v[197:198], s[22:23]
	v_fma_f64 v[238:239], v[177:178], s[24:25], v[236:237]
	v_fma_f64 v[162:163], v[177:178], s[24:25], -v[236:237]
	v_mov_b32_e32 v237, v39
	v_mov_b32_e32 v236, v36
	v_add_f64 v[219:220], v[238:239], v[219:220]
	v_fma_f64 v[238:239], v[199:200], s[18:19], -v[215:216]
	v_add_f64 v[152:153], v[238:239], v[152:153]
	v_fma_f64 v[238:239], v[191:192], s[18:19], v[211:212]
	v_add_f64 v[219:220], v[238:239], v[219:220]
	v_fma_f64 v[238:239], v[175:176], s[24:25], v[183:184]
	v_fma_f64 v[183:184], v[175:176], s[24:25], -v[183:184]
	v_add_f64 v[158:159], v[238:239], v[158:159]
	v_fma_f64 v[238:239], v[169:170], s[24:25], -v[171:172]
	v_fma_f64 v[171:172], v[169:170], s[24:25], v[171:172]
	v_add_f64 v[150:151], v[183:184], v[150:151]
	v_mul_f64 v[183:184], v[205:206], s[10:11]
	v_add_f64 v[221:222], v[238:239], v[221:222]
	v_add_f64 v[166:167], v[171:172], v[166:167]
	v_mul_f64 v[171:172], v[181:182], s[10:11]
	v_fma_f64 v[205:206], v[179:180], s[2:3], v[183:184]
	v_fma_f64 v[183:184], v[179:180], s[2:3], -v[183:184]
	v_mov_b32_e32 v239, v37
	v_fma_f64 v[181:182], v[173:174], s[2:3], -v[171:172]
	v_fma_f64 v[171:172], v[173:174], s[2:3], v[171:172]
	v_add_f64 v[150:151], v[183:184], v[150:151]
	v_mul_f64 v[183:184], v[207:208], s[22:23]
	v_add_f64 v[158:159], v[205:206], v[158:159]
	v_add_f64 v[181:182], v[181:182], v[221:222]
	;; [unrolled: 1-line block ×3, first 2 shown]
	v_fma_f64 v[171:172], v[175:176], s[20:21], v[226:227]
	v_fma_f64 v[205:206], v[193:194], s[18:19], v[183:184]
	v_fma_f64 v[183:184], v[193:194], s[18:19], -v[183:184]
	v_mul_f64 v[175:176], v[195:196], s[40:41]
	v_add_f64 v[160:161], v[171:172], v[160:161]
	v_fma_f64 v[171:172], v[169:170], s[20:21], -v[232:233]
	v_add_f64 v[158:159], v[205:206], v[158:159]
	v_fma_f64 v[205:206], v[199:200], s[26:27], v[140:141]
	v_add_f64 v[150:151], v[183:184], v[150:151]
	v_fma_f64 v[140:141], v[199:200], s[26:27], -v[140:141]
	v_fma_f64 v[183:184], v[177:178], s[18:19], v[197:198]
	v_fma_f64 v[169:170], v[177:178], s[16:17], -v[209:210]
	v_mov_b32_e32 v233, v241
	v_mov_b32_e32 v241, v38
	v_add_f64 v[142:143], v[142:143], v[160:161]
	v_add_f64 v[171:172], v[171:172], v[224:225]
	v_fma_f64 v[160:161], v[191:192], s[26:27], -v[146:147]
	v_add_f64 v[158:159], v[205:206], v[158:159]
	v_fma_f64 v[205:206], v[177:178], s[18:19], -v[197:198]
	v_add_f64 v[150:151], v[140:141], v[150:151]
	v_fma_f64 v[140:141], v[193:194], s[24:25], v[234:235]
	v_add_f64 v[166:167], v[183:184], v[166:167]
	v_fma_f64 v[146:147], v[191:192], s[26:27], v[146:147]
	v_add_f64 v[154:155], v[169:170], v[154:155]
	v_mul_f64 v[169:170], v[203:204], s[8:9]
	v_mov_b32_e32 v235, v244
	v_mov_b32_e32 v234, v243
	;; [unrolled: 1-line block ×3, first 2 shown]
	v_add_f64 v[144:145], v[144:145], v[171:172]
	v_add_f64 v[181:182], v[205:206], v[181:182]
	;; [unrolled: 1-line block ×4, first 2 shown]
	v_fma_f64 v[146:147], v[199:200], s[20:21], v[213:214]
	v_mul_f64 v[166:167], v[203:204], s[40:41]
	v_fma_f64 v[173:174], v[201:202], s[16:17], v[169:170]
	v_add_f64 v[164:165], v[164:165], v[154:155]
	v_add_f64 v[142:143], v[162:163], v[144:145]
	v_fma_f64 v[162:163], v[191:192], s[18:19], -v[211:212]
	v_fma_f64 v[144:145], v[199:200], s[18:19], v[215:216]
	v_add_f64 v[160:161], v[160:161], v[181:182]
	v_fma_f64 v[181:182], v[189:190], s[18:19], -v[230:231]
	v_add_f64 v[177:178], v[146:147], v[148:149]
	v_fma_f64 v[146:147], v[189:190], s[2:3], v[175:176]
	v_fma_f64 v[175:176], v[189:190], s[2:3], -v[175:176]
	v_add_f64 v[162:163], v[162:163], v[142:143]
	v_mul_f64 v[142:143], v[195:196], s[8:9]
	v_add_f64 v[171:172], v[144:145], v[140:141]
	v_fma_f64 v[140:141], v[201:202], s[2:3], -v[166:167]
	v_fma_f64 v[144:145], v[201:202], s[16:17], -v[169:170]
	v_fma_f64 v[166:167], v[201:202], s[2:3], v[166:167]
	v_fma_f64 v[169:170], v[201:202], s[18:19], v[228:229]
	;; [unrolled: 1-line block ×3, first 2 shown]
	v_fma_f64 v[179:180], v[189:190], s[16:17], -v[142:143]
	v_add_f64 v[142:143], v[140:141], v[152:153]
	v_add_f64 v[140:141], v[146:147], v[219:220]
	;; [unrolled: 1-line block ×9, first 2 shown]
	buffer_load_dword v161, off, s[48:51], 0 ; 4-byte Folded Reload
	v_add_f64 v[156:157], v[181:182], v[164:165]
	v_mov_b32_e32 v160, 4
	s_waitcnt vmcnt(0)
	v_lshlrev_b32_sdwa v160, v160, v161 dst_sel:DWORD dst_unused:UNUSED_PAD src0_sel:DWORD src1_sel:WORD_0
	ds_write_b128 v160, v[0:3]
	ds_write_b128 v160, v[136:139] offset:16
	ds_write_b128 v160, v[128:131] offset:32
	;; [unrolled: 1-line block ×12, first 2 shown]
.LBB0_17:
	s_or_b32 exec_lo, exec_lo, s1
	s_waitcnt lgkmcnt(0)
	s_barrier
	buffer_gl0_inv
	ds_read_b128 v[0:3], v168 offset:12480
	ds_read_b128 v[120:123], v168 offset:14976
	;; [unrolled: 1-line block ×6, first 2 shown]
	s_clause 0xf
	buffer_load_dword v8, off, s[48:51], 0 offset:20
	buffer_load_dword v9, off, s[48:51], 0 offset:24
	;; [unrolled: 1-line block ×16, first 2 shown]
	ds_read_b128 v[140:143], v168
	ds_read_b128 v[144:147], v168 offset:2496
	ds_read_b128 v[148:151], v168 offset:4992
	;; [unrolled: 1-line block ×3, first 2 shown]
	s_waitcnt vmcnt(0) lgkmcnt(0)
	s_barrier
	buffer_gl0_inv
	s_mov_b32 s10, 0x134454ff
	s_mov_b32 s11, 0xbfee6f0e
	s_mov_b32 s9, 0x3fee6f0e
	s_mov_b32 s8, s10
	s_mov_b32 s16, 0x4755a5e
	s_mov_b32 s17, 0xbfe2cf23
	s_mov_b32 s19, 0x3fe2cf23
	s_mov_b32 s18, s16
	s_mov_b32 s2, 0x372fe950
	s_mov_b32 s3, 0x3fd3c6ef
	v_mul_f64 v[164:165], v[249:250], v[134:135]
	s_mov_b32 s20, 0x9b97f4a8
	s_mov_b32 s21, 0x3fe9e377
	;; [unrolled: 1-line block ×6, first 2 shown]
	v_mul_f64 v[156:157], v[10:11], v[2:3]
	v_mul_f64 v[14:15], v[10:11], v[0:1]
	;; [unrolled: 1-line block ×9, first 2 shown]
	v_fma_f64 v[0:1], v[8:9], v[0:1], v[156:157]
	v_fma_f64 v[2:3], v[8:9], v[2:3], -v[14:15]
	v_fma_f64 v[12:13], v[16:17], v[120:121], v[158:159]
	v_fma_f64 v[14:15], v[16:17], v[122:123], -v[18:19]
	;; [unrolled: 2-line block ×5, first 2 shown]
	v_add_f64 v[0:1], v[140:141], -v[0:1]
	v_add_f64 v[2:3], v[142:143], -v[2:3]
	v_add_f64 v[4:5], v[144:145], -v[12:13]
	v_add_f64 v[6:7], v[146:147], -v[14:15]
	v_add_f64 v[8:9], v[148:149], -v[16:17]
	v_add_f64 v[10:11], v[150:151], -v[18:19]
	v_add_f64 v[12:13], v[152:153], -v[20:21]
	v_add_f64 v[14:15], v[154:155], -v[22:23]
	v_add_f64 v[16:17], v[136:137], -v[120:121]
	v_add_f64 v[18:19], v[138:139], -v[122:123]
	v_fma_f64 v[20:21], v[140:141], 2.0, -v[0:1]
	v_fma_f64 v[22:23], v[142:143], 2.0, -v[2:3]
	;; [unrolled: 1-line block ×10, first 2 shown]
	ds_write_b128 v237, v[0:3] offset:208
	ds_write_b128 v237, v[20:23]
	ds_write_b128 v255, v[120:123]
	ds_write_b128 v255, v[4:7] offset:208
	ds_write_b128 v235, v[124:127]
	ds_write_b128 v235, v[8:11] offset:208
	;; [unrolled: 2-line block ×4, first 2 shown]
	s_waitcnt lgkmcnt(0)
	s_barrier
	buffer_gl0_inv
	ds_read_b128 v[0:3], v168 offset:12480
	ds_read_b128 v[4:7], v168 offset:14976
	;; [unrolled: 1-line block ×6, first 2 shown]
	s_clause 0xf
	buffer_load_dword v32, off, s[48:51], 0 offset:116
	buffer_load_dword v33, off, s[48:51], 0 offset:120
	;; [unrolled: 1-line block ×16, first 2 shown]
	ds_read_b128 v[120:123], v168
	ds_read_b128 v[124:127], v168 offset:2496
	ds_read_b128 v[128:131], v168 offset:4992
	ds_read_b128 v[132:135], v168 offset:7488
	s_waitcnt vmcnt(0) lgkmcnt(0)
	s_barrier
	buffer_gl0_inv
	v_mul_f64 v[140:141], v[46:47], v[10:11]
	v_mul_f64 v[46:47], v[46:47], v[8:9]
	v_fma_f64 v[8:9], v[44:45], v[8:9], v[140:141]
	v_fma_f64 v[10:11], v[44:45], v[10:11], -v[46:47]
	v_add_f64 v[8:9], v[128:129], -v[8:9]
	v_add_f64 v[10:11], v[130:131], -v[10:11]
	v_fma_f64 v[36:37], v[128:129], 2.0, -v[8:9]
	v_mul_f64 v[136:137], v[34:35], v[2:3]
	v_mul_f64 v[38:39], v[34:35], v[0:1]
	;; [unrolled: 1-line block ×8, first 2 shown]
	v_fma_f64 v[0:1], v[32:33], v[0:1], v[136:137]
	v_fma_f64 v[2:3], v[32:33], v[2:3], -v[38:39]
	v_fma_f64 v[4:5], v[40:41], v[4:5], v[138:139]
	v_fma_f64 v[6:7], v[40:41], v[6:7], -v[42:43]
	;; [unrolled: 2-line block ×4, first 2 shown]
	v_fma_f64 v[38:39], v[130:131], 2.0, -v[10:11]
	v_add_f64 v[0:1], v[120:121], -v[0:1]
	v_add_f64 v[2:3], v[122:123], -v[2:3]
	;; [unrolled: 1-line block ×8, first 2 shown]
	v_fma_f64 v[28:29], v[120:121], 2.0, -v[0:1]
	v_fma_f64 v[30:31], v[122:123], 2.0, -v[2:3]
	;; [unrolled: 1-line block ×8, first 2 shown]
	ds_write_b128 v243, v[0:3] offset:416
	ds_write_b128 v243, v[28:31]
	ds_write_b128 v251, v[32:35]
	ds_write_b128 v251, v[4:7] offset:416
	ds_write_b128 v241, v[36:39]
	ds_write_b128 v241, v[8:11] offset:416
	;; [unrolled: 2-line block ×4, first 2 shown]
	s_waitcnt lgkmcnt(0)
	s_barrier
	buffer_gl0_inv
	ds_read_b128 v[0:3], v168 offset:7488
	ds_read_b128 v[4:7], v168 offset:12480
	;; [unrolled: 1-line block ×9, first 2 shown]
	ds_read_b128 v[40:43], v168
	s_clause 0x3
	buffer_load_dword v24, off, s[48:51], 0 offset:68
	buffer_load_dword v25, off, s[48:51], 0 offset:72
	;; [unrolled: 1-line block ×4, first 2 shown]
	s_waitcnt vmcnt(0) lgkmcnt(0)
	s_barrier
	buffer_gl0_inv
	v_mul_f64 v[44:45], v[50:51], v[0:1]
	v_mul_f64 v[46:47], v[58:59], v[4:5]
	;; [unrolled: 1-line block ×16, first 2 shown]
	v_fma_f64 v[2:3], v[48:49], v[2:3], -v[44:45]
	v_fma_f64 v[6:7], v[56:57], v[6:7], -v[46:47]
	;; [unrolled: 1-line block ×4, first 2 shown]
	v_fma_f64 v[0:1], v[48:49], v[0:1], v[50:51]
	v_fma_f64 v[4:5], v[56:57], v[4:5], v[58:59]
	;; [unrolled: 1-line block ×5, first 2 shown]
	v_fma_f64 v[22:23], v[76:77], v[22:23], -v[78:79]
	v_fma_f64 v[28:29], v[72:73], v[28:29], v[128:129]
	v_fma_f64 v[30:31], v[72:73], v[30:31], -v[74:75]
	v_fma_f64 v[32:33], v[68:69], v[32:33], v[130:131]
	v_fma_f64 v[38:39], v[64:65], v[38:39], -v[132:133]
	v_fma_f64 v[34:35], v[68:69], v[34:35], -v[70:71]
	v_fma_f64 v[36:37], v[64:65], v[36:37], v[66:67]
	v_add_f64 v[128:129], v[6:7], -v[2:3]
	v_add_f64 v[44:45], v[6:7], v[10:11]
	v_add_f64 v[46:47], v[2:3], v[14:15]
	v_add_f64 v[122:123], v[2:3], -v[14:15]
	v_add_f64 v[126:127], v[14:15], -v[10:11]
	v_add_f64 v[56:57], v[4:5], v[8:9]
	v_add_f64 v[58:59], v[0:1], v[12:13]
	v_add_f64 v[60:61], v[0:1], -v[12:13]
	v_add_f64 v[62:63], v[4:5], -v[8:9]
	;; [unrolled: 1-line block ×5, first 2 shown]
	v_add_f64 v[120:121], v[22:23], v[38:39]
	v_add_f64 v[72:73], v[30:31], v[34:35]
	v_add_f64 v[54:55], v[36:37], -v[32:33]
	v_add_f64 v[64:65], v[20:21], v[36:37]
	v_add_f64 v[70:71], v[42:43], v[22:23]
	v_add_f64 v[48:49], v[22:23], -v[38:39]
	v_add_f64 v[50:51], v[30:31], -v[34:35]
	;; [unrolled: 1-line block ×12, first 2 shown]
	v_add_f64 v[30:31], v[70:71], v[30:31]
	v_add_f64 v[22:23], v[22:23], v[134:135]
	;; [unrolled: 1-line block ×4, first 2 shown]
	v_mul_f64 v[124:125], v[26:27], v[16:17]
	v_mul_f64 v[26:27], v[26:27], v[18:19]
	v_fma_f64 v[18:19], v[24:25], v[18:19], -v[124:125]
	v_fma_f64 v[16:17], v[24:25], v[16:17], v[26:27]
	v_add_f64 v[24:25], v[40:41], v[20:21]
	v_add_f64 v[26:27], v[28:29], v[32:33]
	v_add_f64 v[124:125], v[2:3], -v[6:7]
	v_add_f64 v[20:21], v[20:21], -v[36:37]
	v_fma_f64 v[44:45], v[44:45], -0.5, v[18:19]
	v_fma_f64 v[46:47], v[46:47], -0.5, v[18:19]
	;; [unrolled: 1-line block ×4, first 2 shown]
	v_add_f64 v[16:17], v[16:17], v[0:1]
	v_add_f64 v[2:3], v[18:19], v[2:3]
	v_add_f64 v[0:1], v[4:5], -v[0:1]
	v_fma_f64 v[18:19], v[26:27], -0.5, v[40:41]
	v_add_f64 v[24:25], v[24:25], v[28:29]
	v_fma_f64 v[26:27], v[64:65], -0.5, v[40:41]
	v_add_f64 v[28:29], v[52:53], v[54:55]
	v_fma_f64 v[40:41], v[72:73], -0.5, v[42:43]
	v_fma_f64 v[42:43], v[120:121], -0.5, v[42:43]
	v_add_f64 v[52:53], v[124:125], v[126:127]
	v_add_f64 v[54:55], v[128:129], v[130:131]
	v_fma_f64 v[136:137], v[60:61], s[8:9], v[44:45]
	v_fma_f64 v[138:139], v[62:63], s[10:11], v[46:47]
	;; [unrolled: 1-line block ×8, first 2 shown]
	v_add_f64 v[4:5], v[16:17], v[4:5]
	v_add_f64 v[2:3], v[2:3], v[6:7]
	;; [unrolled: 1-line block ×4, first 2 shown]
	v_fma_f64 v[6:7], v[48:49], s[10:11], v[18:19]
	v_fma_f64 v[18:19], v[48:49], s[8:9], v[18:19]
	v_add_f64 v[24:25], v[24:25], v[32:33]
	v_fma_f64 v[120:121], v[62:63], s[18:19], v[136:137]
	v_fma_f64 v[124:125], v[60:61], s[18:19], v[138:139]
	;; [unrolled: 1-line block ×4, first 2 shown]
	v_add_f64 v[60:61], v[66:67], v[68:69]
	v_fma_f64 v[62:63], v[50:51], s[8:9], v[26:27]
	v_fma_f64 v[26:27], v[50:51], s[10:11], v[26:27]
	;; [unrolled: 1-line block ×10, first 2 shown]
	v_add_f64 v[4:5], v[4:5], v[8:9]
	v_add_f64 v[2:3], v[2:3], v[10:11]
	v_fma_f64 v[6:7], v[50:51], s[16:17], v[6:7]
	v_fma_f64 v[8:9], v[50:51], s[18:19], v[18:19]
	v_add_f64 v[24:25], v[24:25], v[36:37]
	v_fma_f64 v[72:73], v[52:53], s[2:3], v[120:121]
	v_fma_f64 v[120:121], v[54:55], s[2:3], v[124:125]
	;; [unrolled: 1-line block ×4, first 2 shown]
	v_add_f64 v[52:53], v[76:77], v[78:79]
	v_fma_f64 v[10:11], v[48:49], s[16:17], v[62:63]
	v_fma_f64 v[18:19], v[48:49], s[18:19], v[26:27]
	v_fma_f64 v[26:27], v[74:75], s[18:19], v[66:67]
	v_fma_f64 v[32:33], v[74:75], s[16:17], v[40:41]
	v_fma_f64 v[34:35], v[20:21], s[18:19], v[68:69]
	v_fma_f64 v[20:21], v[20:21], s[16:17], v[42:43]
	v_fma_f64 v[40:41], v[16:17], s[2:3], v[64:65]
	v_fma_f64 v[42:43], v[0:1], s[2:3], v[70:71]
	v_fma_f64 v[0:1], v[0:1], s[2:3], v[58:59]
	v_fma_f64 v[16:17], v[16:17], s[2:3], v[56:57]
	v_add_f64 v[12:13], v[4:5], v[12:13]
	v_add_f64 v[2:3], v[2:3], v[14:15]
	v_fma_f64 v[36:37], v[28:29], s[2:3], v[6:7]
	v_fma_f64 v[38:39], v[28:29], s[2:3], v[8:9]
	v_mul_f64 v[48:49], v[72:73], s[16:17]
	v_mul_f64 v[58:59], v[72:73], s[20:21]
	;; [unrolled: 1-line block ×8, first 2 shown]
	v_fma_f64 v[66:67], v[52:53], s[2:3], v[26:27]
	v_fma_f64 v[64:65], v[60:61], s[2:3], v[10:11]
	;; [unrolled: 1-line block ×6, first 2 shown]
	v_add_f64 v[4:5], v[24:25], v[12:13]
	v_add_f64 v[6:7], v[30:31], v[2:3]
	v_add_f64 v[8:9], v[24:25], -v[12:13]
	v_add_f64 v[10:11], v[30:31], -v[2:3]
	v_fma_f64 v[28:29], v[40:41], s[20:21], v[48:49]
	v_fma_f64 v[40:41], v[40:41], s[18:19], v[58:59]
	;; [unrolled: 1-line block ×8, first 2 shown]
	v_add_f64 v[12:13], v[36:37], v[28:29]
	v_add_f64 v[14:15], v[66:67], v[40:41]
	;; [unrolled: 1-line block ×8, first 2 shown]
	v_add_f64 v[28:29], v[36:37], -v[28:29]
	v_add_f64 v[30:31], v[66:67], -v[40:41]
	;; [unrolled: 1-line block ×8, first 2 shown]
	ds_write_b128 v223, v[4:7]
	ds_write_b128 v223, v[8:11] offset:4160
	ds_write_b128 v223, v[12:15] offset:832
	;; [unrolled: 1-line block ×9, first 2 shown]
	s_waitcnt lgkmcnt(0)
	s_barrier
	buffer_gl0_inv
	ds_read_b128 v[12:15], v168
	ds_read_b128 v[4:7], v168 offset:2496
	ds_read_b128 v[28:31], v168 offset:16640
	;; [unrolled: 1-line block ×8, first 2 shown]
	s_and_saveexec_b32 s1, s0
	s_cbranch_execz .LBB0_19
; %bb.18:
	ds_read_b128 v[0:3], v168 offset:7488
	ds_read_b128 v[116:119], v168 offset:15808
	ds_read_b128 v[112:115], v168 offset:24128
.LBB0_19:
	s_or_b32 exec_lo, exec_lo, s1
	s_waitcnt lgkmcnt(4)
	v_mul_f64 v[40:41], v[98:99], v[38:39]
	v_mul_f64 v[42:43], v[102:103], v[30:31]
	;; [unrolled: 1-line block ×4, first 2 shown]
	s_waitcnt lgkmcnt(2)
	v_mul_f64 v[48:49], v[90:91], v[34:35]
	v_mul_f64 v[50:51], v[94:95], v[18:19]
	;; [unrolled: 1-line block ×4, first 2 shown]
	s_waitcnt lgkmcnt(1)
	v_mul_f64 v[56:57], v[106:107], v[22:23]
	s_waitcnt lgkmcnt(0)
	v_mul_f64 v[58:59], v[110:111], v[26:27]
	v_mul_f64 v[60:61], v[106:107], v[20:21]
	v_mul_f64 v[62:63], v[110:111], v[24:25]
	s_mov_b32 s2, 0xe8584caa
	s_mov_b32 s3, 0xbfebb67a
	;; [unrolled: 1-line block ×4, first 2 shown]
	v_fma_f64 v[36:37], v[96:97], v[36:37], v[40:41]
	v_fma_f64 v[28:29], v[100:101], v[28:29], v[42:43]
	v_fma_f64 v[38:39], v[96:97], v[38:39], -v[44:45]
	v_fma_f64 v[30:31], v[100:101], v[30:31], -v[46:47]
	v_fma_f64 v[32:33], v[88:89], v[32:33], v[48:49]
	v_fma_f64 v[16:17], v[92:93], v[16:17], v[50:51]
	v_fma_f64 v[34:35], v[88:89], v[34:35], -v[52:53]
	v_fma_f64 v[18:19], v[92:93], v[18:19], -v[54:55]
	;; [unrolled: 4-line block ×3, first 2 shown]
	v_add_f64 v[52:53], v[12:13], v[36:37]
	v_add_f64 v[40:41], v[36:37], v[28:29]
	v_add_f64 v[36:37], v[36:37], -v[28:29]
	v_add_f64 v[42:43], v[38:39], v[30:31]
	v_add_f64 v[54:55], v[38:39], -v[30:31]
	v_add_f64 v[44:45], v[32:33], v[16:17]
	v_add_f64 v[38:39], v[14:15], v[38:39]
	v_add_f64 v[46:47], v[34:35], v[18:19]
	v_add_f64 v[56:57], v[4:5], v[32:33]
	v_add_f64 v[48:49], v[20:21], v[24:25]
	v_add_f64 v[58:59], v[6:7], v[34:35]
	v_add_f64 v[50:51], v[22:23], v[26:27]
	v_add_f64 v[60:61], v[8:9], v[20:21]
	v_add_f64 v[62:63], v[10:11], v[22:23]
	v_add_f64 v[34:35], v[34:35], -v[18:19]
	v_add_f64 v[32:33], v[32:33], -v[16:17]
	;; [unrolled: 1-line block ×4, first 2 shown]
	v_fma_f64 v[40:41], v[40:41], -0.5, v[12:13]
	v_fma_f64 v[42:43], v[42:43], -0.5, v[14:15]
	;; [unrolled: 1-line block ×3, first 2 shown]
	v_add_f64 v[4:5], v[52:53], v[28:29]
	v_fma_f64 v[46:47], v[46:47], -0.5, v[6:7]
	v_add_f64 v[6:7], v[38:39], v[30:31]
	v_fma_f64 v[48:49], v[48:49], -0.5, v[8:9]
	;; [unrolled: 2-line block ×3, first 2 shown]
	v_add_f64 v[10:11], v[58:59], v[18:19]
	v_add_f64 v[12:13], v[60:61], v[24:25]
	v_add_f64 v[14:15], v[62:63], v[26:27]
	v_fma_f64 v[16:17], v[54:55], s[2:3], v[40:41]
	v_fma_f64 v[20:21], v[54:55], s[8:9], v[40:41]
	;; [unrolled: 1-line block ×12, first 2 shown]
	ds_write_b128 v168, v[4:7]
	ds_write_b128 v168, v[8:11] offset:2496
	ds_write_b128 v168, v[12:15] offset:4992
	;; [unrolled: 1-line block ×8, first 2 shown]
	s_and_saveexec_b32 s1, s0
	s_cbranch_execz .LBB0_21
; %bb.20:
	v_mul_f64 v[4:5], v[82:83], v[116:117]
	v_mul_f64 v[6:7], v[86:87], v[112:113]
	v_mul_f64 v[8:9], v[82:83], v[118:119]
	v_mul_f64 v[10:11], v[86:87], v[114:115]
	v_fma_f64 v[4:5], v[80:81], v[118:119], -v[4:5]
	v_fma_f64 v[6:7], v[84:85], v[114:115], -v[6:7]
	v_fma_f64 v[8:9], v[80:81], v[116:117], v[8:9]
	v_fma_f64 v[10:11], v[84:85], v[112:113], v[10:11]
	v_add_f64 v[18:19], v[2:3], v[4:5]
	v_add_f64 v[12:13], v[4:5], v[6:7]
	v_add_f64 v[4:5], v[4:5], -v[6:7]
	v_add_f64 v[14:15], v[8:9], v[10:11]
	v_add_f64 v[16:17], v[8:9], -v[10:11]
	v_add_f64 v[8:9], v[0:1], v[8:9]
	v_fma_f64 v[12:13], v[12:13], -0.5, v[2:3]
	v_add_f64 v[2:3], v[18:19], v[6:7]
	v_fma_f64 v[14:15], v[14:15], -0.5, v[0:1]
	v_add_f64 v[0:1], v[8:9], v[10:11]
	v_fma_f64 v[10:11], v[16:17], s[8:9], v[12:13]
	v_fma_f64 v[6:7], v[16:17], s[2:3], v[12:13]
	;; [unrolled: 1-line block ×4, first 2 shown]
	ds_write_b128 v168, v[0:3] offset:7488
	ds_write_b128 v168, v[8:11] offset:15808
	;; [unrolled: 1-line block ×3, first 2 shown]
.LBB0_21:
	s_or_b32 exec_lo, exec_lo, s1
	s_waitcnt lgkmcnt(0)
	s_barrier
	buffer_gl0_inv
	s_and_b32 exec_lo, exec_lo, vcc_lo
	s_cbranch_execz .LBB0_23
; %bb.22:
	v_add_co_u32 v0, s0, s14, v252
	v_add_co_ci_u32_e64 v1, null, s15, 0, s0
	v_mad_u64_u32 v[50:51], null, s6, v233, 0
	v_add_co_u32 v10, vcc_lo, 0x800, v0
	v_add_co_ci_u32_e32 v11, vcc_lo, 0, v1, vcc_lo
	v_add_co_u32 v14, vcc_lo, 0x1000, v0
	v_add_co_ci_u32_e32 v15, vcc_lo, 0, v1, vcc_lo
	;; [unrolled: 2-line block ×8, first 2 shown]
	s_clause 0x3
	global_load_dwordx4 v[2:5], v252, s[14:15]
	global_load_dwordx4 v[6:9], v252, s[14:15] offset:1920
	global_load_dwordx4 v[10:13], v[10:11], off offset:1792
	global_load_dwordx4 v[14:17], v[14:15], off offset:1664
	v_add_co_u32 v42, vcc_lo, 0x4800, v0
	v_add_co_ci_u32_e32 v43, vcc_lo, 0, v1, vcc_lo
	v_add_co_u32 v46, vcc_lo, 0x5000, v0
	s_clause 0x4
	global_load_dwordx4 v[18:21], v[18:19], off offset:1536
	global_load_dwordx4 v[22:25], v[22:23], off offset:1408
	;; [unrolled: 1-line block ×5, first 2 shown]
	v_add_co_ci_u32_e32 v47, vcc_lo, 0, v1, vcc_lo
	s_clause 0x2
	global_load_dwordx4 v[38:41], v[38:39], off offset:896
	global_load_dwordx4 v[42:45], v[42:43], off offset:768
	;; [unrolled: 1-line block ×3, first 2 shown]
	v_mad_u64_u32 v[52:53], null, s4, v242, 0
	s_mul_i32 s0, s5, 0x780
	s_mul_hi_u32 s1, s4, 0x780
	s_mul_i32 s2, s4, 0x780
	s_add_i32 s3, s1, s0
	s_mov_b32 s0, 0x15015015
	s_mov_b32 s1, 0x3f450150
	v_mad_u64_u32 v[54:55], null, s7, v233, v[51:52]
	v_mad_u64_u32 v[55:56], null, s5, v242, v[53:54]
	v_mov_b32_e32 v51, v54
	v_lshlrev_b64 v[50:51], 4, v[50:51]
	v_mov_b32_e32 v53, v55
	v_lshlrev_b64 v[52:53], 4, v[52:53]
	v_add_co_u32 v50, vcc_lo, s12, v50
	v_add_co_ci_u32_e32 v51, vcc_lo, s13, v51, vcc_lo
	v_add_co_u32 v102, vcc_lo, v50, v52
	v_add_co_ci_u32_e32 v103, vcc_lo, v51, v53, vcc_lo
	ds_read_b128 v[50:53], v168
	ds_read_b128 v[54:57], v252 offset:1920
	ds_read_b128 v[58:61], v252 offset:3840
	ds_read_b128 v[62:65], v252 offset:5760
	ds_read_b128 v[66:69], v252 offset:7680
	ds_read_b128 v[70:73], v252 offset:9600
	ds_read_b128 v[74:77], v252 offset:11520
	ds_read_b128 v[78:81], v252 offset:13440
	ds_read_b128 v[82:85], v252 offset:15360
	ds_read_b128 v[86:89], v252 offset:17280
	ds_read_b128 v[90:93], v252 offset:19200
	ds_read_b128 v[94:97], v252 offset:21120
	ds_read_b128 v[98:101], v252 offset:23040
	v_add_co_u32 v104, vcc_lo, v102, s2
	v_add_co_ci_u32_e32 v105, vcc_lo, s3, v103, vcc_lo
	v_add_co_u32 v106, vcc_lo, v104, s2
	v_add_co_ci_u32_e32 v107, vcc_lo, s3, v105, vcc_lo
	;; [unrolled: 2-line block ×9, first 2 shown]
	s_waitcnt vmcnt(11) lgkmcnt(12)
	v_mul_f64 v[122:123], v[52:53], v[4:5]
	v_mul_f64 v[4:5], v[50:51], v[4:5]
	s_waitcnt vmcnt(10) lgkmcnt(11)
	v_mul_f64 v[124:125], v[56:57], v[8:9]
	v_mul_f64 v[8:9], v[54:55], v[8:9]
	;; [unrolled: 3-line block ×12, first 2 shown]
	v_fma_f64 v[50:51], v[50:51], v[2:3], v[122:123]
	v_fma_f64 v[4:5], v[2:3], v[52:53], -v[4:5]
	v_fma_f64 v[52:53], v[54:55], v[6:7], v[124:125]
	v_fma_f64 v[8:9], v[6:7], v[56:57], -v[8:9]
	;; [unrolled: 2-line block ×12, first 2 shown]
	v_mul_f64 v[2:3], v[50:51], s[0:1]
	v_mul_f64 v[4:5], v[4:5], s[0:1]
	;; [unrolled: 1-line block ×24, first 2 shown]
	v_add_co_u32 v50, vcc_lo, v120, s2
	v_add_co_ci_u32_e32 v51, vcc_lo, s3, v121, vcc_lo
	v_add_co_u32 v0, vcc_lo, 0x5800, v0
	v_add_co_ci_u32_e32 v1, vcc_lo, 0, v1, vcc_lo
	v_add_co_u32 v52, vcc_lo, v50, s2
	v_add_co_ci_u32_e32 v53, vcc_lo, s3, v51, vcc_lo
	global_store_dwordx4 v[102:103], v[2:5], off
	global_store_dwordx4 v[104:105], v[6:9], off
	;; [unrolled: 1-line block ×12, first 2 shown]
	global_load_dwordx4 v[0:3], v[0:1], off offset:512
	s_waitcnt vmcnt(0) lgkmcnt(0)
	v_mul_f64 v[4:5], v[100:101], v[2:3]
	v_mul_f64 v[2:3], v[98:99], v[2:3]
	v_fma_f64 v[4:5], v[98:99], v[0:1], v[4:5]
	v_fma_f64 v[2:3], v[0:1], v[100:101], -v[2:3]
	v_mul_f64 v[0:1], v[4:5], s[0:1]
	v_mul_f64 v[2:3], v[2:3], s[0:1]
	v_add_co_u32 v4, vcc_lo, v52, s2
	v_add_co_ci_u32_e32 v5, vcc_lo, s3, v53, vcc_lo
	global_store_dwordx4 v[4:5], v[0:3], off
.LBB0_23:
	s_endpgm
	.section	.rodata,"a",@progbits
	.p2align	6, 0x0
	.amdhsa_kernel bluestein_single_fwd_len1560_dim1_dp_op_CI_CI
		.amdhsa_group_segment_fixed_size 24960
		.amdhsa_private_segment_fixed_size 152
		.amdhsa_kernarg_size 104
		.amdhsa_user_sgpr_count 6
		.amdhsa_user_sgpr_private_segment_buffer 1
		.amdhsa_user_sgpr_dispatch_ptr 0
		.amdhsa_user_sgpr_queue_ptr 0
		.amdhsa_user_sgpr_kernarg_segment_ptr 1
		.amdhsa_user_sgpr_dispatch_id 0
		.amdhsa_user_sgpr_flat_scratch_init 0
		.amdhsa_user_sgpr_private_segment_size 0
		.amdhsa_wavefront_size32 1
		.amdhsa_uses_dynamic_stack 0
		.amdhsa_system_sgpr_private_segment_wavefront_offset 1
		.amdhsa_system_sgpr_workgroup_id_x 1
		.amdhsa_system_sgpr_workgroup_id_y 0
		.amdhsa_system_sgpr_workgroup_id_z 0
		.amdhsa_system_sgpr_workgroup_info 0
		.amdhsa_system_vgpr_workitem_id 0
		.amdhsa_next_free_vgpr 256
		.amdhsa_next_free_sgpr 52
		.amdhsa_reserve_vcc 1
		.amdhsa_reserve_flat_scratch 0
		.amdhsa_float_round_mode_32 0
		.amdhsa_float_round_mode_16_64 0
		.amdhsa_float_denorm_mode_32 3
		.amdhsa_float_denorm_mode_16_64 3
		.amdhsa_dx10_clamp 1
		.amdhsa_ieee_mode 1
		.amdhsa_fp16_overflow 0
		.amdhsa_workgroup_processor_mode 1
		.amdhsa_memory_ordered 1
		.amdhsa_forward_progress 0
		.amdhsa_shared_vgpr_count 0
		.amdhsa_exception_fp_ieee_invalid_op 0
		.amdhsa_exception_fp_denorm_src 0
		.amdhsa_exception_fp_ieee_div_zero 0
		.amdhsa_exception_fp_ieee_overflow 0
		.amdhsa_exception_fp_ieee_underflow 0
		.amdhsa_exception_fp_ieee_inexact 0
		.amdhsa_exception_int_div_zero 0
	.end_amdhsa_kernel
	.text
.Lfunc_end0:
	.size	bluestein_single_fwd_len1560_dim1_dp_op_CI_CI, .Lfunc_end0-bluestein_single_fwd_len1560_dim1_dp_op_CI_CI
                                        ; -- End function
	.section	.AMDGPU.csdata,"",@progbits
; Kernel info:
; codeLenInByte = 21748
; NumSgprs: 54
; NumVgprs: 256
; ScratchSize: 152
; MemoryBound: 0
; FloatMode: 240
; IeeeMode: 1
; LDSByteSize: 24960 bytes/workgroup (compile time only)
; SGPRBlocks: 6
; VGPRBlocks: 31
; NumSGPRsForWavesPerEU: 54
; NumVGPRsForWavesPerEU: 256
; Occupancy: 4
; WaveLimiterHint : 1
; COMPUTE_PGM_RSRC2:SCRATCH_EN: 1
; COMPUTE_PGM_RSRC2:USER_SGPR: 6
; COMPUTE_PGM_RSRC2:TRAP_HANDLER: 0
; COMPUTE_PGM_RSRC2:TGID_X_EN: 1
; COMPUTE_PGM_RSRC2:TGID_Y_EN: 0
; COMPUTE_PGM_RSRC2:TGID_Z_EN: 0
; COMPUTE_PGM_RSRC2:TIDIG_COMP_CNT: 0
	.text
	.p2alignl 6, 3214868480
	.fill 48, 4, 3214868480
	.type	__hip_cuid_68d0746fb2d46a39,@object ; @__hip_cuid_68d0746fb2d46a39
	.section	.bss,"aw",@nobits
	.globl	__hip_cuid_68d0746fb2d46a39
__hip_cuid_68d0746fb2d46a39:
	.byte	0                               ; 0x0
	.size	__hip_cuid_68d0746fb2d46a39, 1

	.ident	"AMD clang version 19.0.0git (https://github.com/RadeonOpenCompute/llvm-project roc-6.4.0 25133 c7fe45cf4b819c5991fe208aaa96edf142730f1d)"
	.section	".note.GNU-stack","",@progbits
	.addrsig
	.addrsig_sym __hip_cuid_68d0746fb2d46a39
	.amdgpu_metadata
---
amdhsa.kernels:
  - .args:
      - .actual_access:  read_only
        .address_space:  global
        .offset:         0
        .size:           8
        .value_kind:     global_buffer
      - .actual_access:  read_only
        .address_space:  global
        .offset:         8
        .size:           8
        .value_kind:     global_buffer
      - .actual_access:  read_only
        .address_space:  global
        .offset:         16
        .size:           8
        .value_kind:     global_buffer
      - .actual_access:  read_only
        .address_space:  global
        .offset:         24
        .size:           8
        .value_kind:     global_buffer
      - .actual_access:  read_only
        .address_space:  global
        .offset:         32
        .size:           8
        .value_kind:     global_buffer
      - .offset:         40
        .size:           8
        .value_kind:     by_value
      - .address_space:  global
        .offset:         48
        .size:           8
        .value_kind:     global_buffer
      - .address_space:  global
        .offset:         56
        .size:           8
        .value_kind:     global_buffer
      - .address_space:  global
        .offset:         64
        .size:           8
        .value_kind:     global_buffer
      - .address_space:  global
        .offset:         72
        .size:           8
        .value_kind:     global_buffer
      - .offset:         80
        .size:           4
        .value_kind:     by_value
      - .address_space:  global
        .offset:         88
        .size:           8
        .value_kind:     global_buffer
      - .address_space:  global
        .offset:         96
        .size:           8
        .value_kind:     global_buffer
    .group_segment_fixed_size: 24960
    .kernarg_segment_align: 8
    .kernarg_segment_size: 104
    .language:       OpenCL C
    .language_version:
      - 2
      - 0
    .max_flat_workgroup_size: 156
    .name:           bluestein_single_fwd_len1560_dim1_dp_op_CI_CI
    .private_segment_fixed_size: 152
    .sgpr_count:     54
    .sgpr_spill_count: 0
    .symbol:         bluestein_single_fwd_len1560_dim1_dp_op_CI_CI.kd
    .uniform_work_group_size: 1
    .uses_dynamic_stack: false
    .vgpr_count:     256
    .vgpr_spill_count: 37
    .wavefront_size: 32
    .workgroup_processor_mode: 1
amdhsa.target:   amdgcn-amd-amdhsa--gfx1030
amdhsa.version:
  - 1
  - 2
...

	.end_amdgpu_metadata
